;; amdgpu-corpus repo=ROCm/rocFFT kind=compiled arch=gfx1100 opt=O3
	.text
	.amdgcn_target "amdgcn-amd-amdhsa--gfx1100"
	.amdhsa_code_object_version 6
	.protected	bluestein_single_fwd_len1210_dim1_dp_op_CI_CI ; -- Begin function bluestein_single_fwd_len1210_dim1_dp_op_CI_CI
	.globl	bluestein_single_fwd_len1210_dim1_dp_op_CI_CI
	.p2align	8
	.type	bluestein_single_fwd_len1210_dim1_dp_op_CI_CI,@function
bluestein_single_fwd_len1210_dim1_dp_op_CI_CI: ; @bluestein_single_fwd_len1210_dim1_dp_op_CI_CI
; %bb.0:
	s_load_b128 s[8:11], s[0:1], 0x28
	v_mul_u32_u24_e32 v1, 0x254, v0
	s_mov_b32 s2, exec_lo
	v_mov_b32_e32 v3, 0
	s_delay_alu instid0(VALU_DEP_2) | instskip(NEXT) | instid1(VALU_DEP_1)
	v_lshrrev_b32_e32 v1, 16, v1
	v_add_nc_u32_e32 v2, s15, v1
	s_waitcnt lgkmcnt(0)
	s_delay_alu instid0(VALU_DEP_1)
	v_cmpx_gt_u64_e64 s[8:9], v[2:3]
	s_cbranch_execz .LBB0_23
; %bb.1:
	s_clause 0x1
	s_load_b128 s[4:7], s[0:1], 0x18
	s_load_b64 s[2:3], s[0:1], 0x0
	v_mul_lo_u16 v1, 0x6e, v1
	s_delay_alu instid0(VALU_DEP_1)
	v_sub_nc_u16 v0, v0, v1
	v_mov_b32_e32 v1, v2
	s_waitcnt lgkmcnt(0)
	s_load_b128 s[12:15], s[4:5], 0x0
	s_waitcnt lgkmcnt(0)
	v_mad_u64_u32 v[20:21], null, s14, v2, 0
	v_and_b32_e32 v3, 0xffff, v0
	s_mul_hi_u32 s5, s12, 0x25d
	s_mul_hi_u32 s9, s12, 0xfffffe11
	s_mul_i32 s8, s13, 0xfffffe11
	s_delay_alu instid0(VALU_DEP_1)
	v_dual_mov_b32 v12, v21 :: v_dual_lshlrev_b32 v201, 4, v3
	v_mad_u64_u32 v[22:23], null, s12, v3, 0
	s_clause 0x2
	global_load_b128 v[4:7], v201, s[2:3]
	global_load_b128 v[14:17], v201, s[2:3] offset:1760
	global_load_b128 v[122:125], v201, s[2:3] offset:3520
	v_add_co_u32 v200, s4, s2, v201
	s_delay_alu instid0(VALU_DEP_1) | instskip(SKIP_1) | instid1(VALU_DEP_3)
	v_add_co_ci_u32_e64 v208, null, s3, 0, s4
	v_mov_b32_e32 v13, v23
	v_add_co_u32 v8, vcc_lo, 0x2000, v200
	s_delay_alu instid0(VALU_DEP_3) | instskip(NEXT) | instid1(VALU_DEP_3)
	v_add_co_ci_u32_e32 v9, vcc_lo, 0, v208, vcc_lo
	v_mad_u64_u32 v[26:27], null, s15, v2, v[12:13]
	v_add_co_u32 v24, vcc_lo, 0x3000, v200
	v_add_co_ci_u32_e32 v25, vcc_lo, 0, v208, vcc_lo
	v_add_co_u32 v32, vcc_lo, 0x1000, v200
	s_delay_alu instid0(VALU_DEP_4) | instskip(SKIP_2) | instid1(VALU_DEP_3)
	v_mov_b32_e32 v21, v26
	v_add_co_ci_u32_e32 v33, vcc_lo, 0, v208, vcc_lo
	v_add_co_u32 v10, vcc_lo, 0x4000, v200
	v_lshlrev_b64 v[20:21], 4, v[20:21]
	v_add_co_ci_u32_e32 v11, vcc_lo, 0, v208, vcc_lo
	s_clause 0x1
	scratch_store_b64 off, v[1:2], off offset:64
	scratch_store_b64 off, v[8:9], off offset:88
	s_mul_i32 s3, s13, 0x25d
	v_add_co_u32 v1, vcc_lo, s10, v20
	v_add_co_ci_u32_e32 v2, vcc_lo, s11, v21, vcc_lo
	s_mul_i32 s2, s12, 0x25d
	s_add_i32 s3, s5, s3
	s_sub_i32 s5, s9, s12
	s_lshl_b64 s[10:11], s[2:3], 4
	s_mul_i32 s4, s12, 0xfffffe11
	s_add_i32 s5, s5, s8
	global_load_b128 v[126:129], v[8:9], off offset:1488
	s_lshl_b64 s[2:3], s[4:5], 4
	global_load_b128 v[18:21], v[32:33], off offset:1184
	s_waitcnt vmcnt(3)
	v_mad_u64_u32 v[27:28], null, s13, v3, v[13:14]
	global_load_b128 v[28:31], v[8:9], off offset:3248
	v_mov_b32_e32 v23, v27
	s_delay_alu instid0(VALU_DEP_1) | instskip(NEXT) | instid1(VALU_DEP_1)
	v_lshlrev_b64 v[22:23], 4, v[22:23]
	v_add_co_u32 v34, vcc_lo, v1, v22
	s_delay_alu instid0(VALU_DEP_2)
	v_add_co_ci_u32_e32 v35, vcc_lo, v2, v23, vcc_lo
	s_clause 0x1
	global_load_b128 v[130:133], v[24:25], off offset:912
	global_load_b128 v[22:25], v[24:25], off offset:2672
	v_add_co_u32 v36, vcc_lo, v34, s10
	v_add_co_ci_u32_e32 v37, vcc_lo, s11, v35, vcc_lo
	s_clause 0x1
	global_load_b128 v[42:45], v[34:35], off
	global_load_b128 v[46:49], v[36:37], off
	v_add_co_u32 v38, vcc_lo, v36, s2
	v_add_co_ci_u32_e32 v39, vcc_lo, s3, v37, vcc_lo
	s_delay_alu instid0(VALU_DEP_2) | instskip(NEXT) | instid1(VALU_DEP_2)
	v_add_co_u32 v40, vcc_lo, v38, s10
	v_add_co_ci_u32_e32 v41, vcc_lo, s11, v39, vcc_lo
	s_clause 0x1
	global_load_b128 v[50:53], v[38:39], off
	global_load_b128 v[54:57], v[40:41], off
	v_add_co_u32 v58, vcc_lo, v40, s2
	v_add_co_ci_u32_e32 v59, vcc_lo, s3, v41, vcc_lo
	s_delay_alu instid0(VALU_DEP_2) | instskip(NEXT) | instid1(VALU_DEP_2)
	v_add_co_u32 v34, vcc_lo, v58, s10
	v_add_co_ci_u32_e32 v35, vcc_lo, s11, v59, vcc_lo
	global_load_b128 v[58:61], v[58:59], off
	v_add_co_u32 v36, vcc_lo, v34, s2
	v_add_co_ci_u32_e32 v37, vcc_lo, s3, v35, vcc_lo
	global_load_b128 v[62:65], v[34:35], off
	;; [unrolled: 3-line block ×3, first 2 shown]
	v_add_co_u32 v74, vcc_lo, v38, s2
	v_add_co_ci_u32_e32 v75, vcc_lo, s3, v39, vcc_lo
	s_delay_alu instid0(VALU_DEP_2) | instskip(NEXT) | instid1(VALU_DEP_2)
	v_add_co_u32 v40, vcc_lo, v74, s10
	v_add_co_ci_u32_e32 v41, vcc_lo, s11, v75, vcc_lo
	global_load_b128 v[70:73], v[38:39], off
	global_load_b128 v[32:35], v[32:33], off offset:2944
	global_load_b128 v[74:77], v[74:75], off
	global_load_b128 v[36:39], v[10:11], off offset:336
	global_load_b128 v[78:81], v[40:41], off
	s_clause 0x1
	scratch_store_b128 off, v[4:7], off offset:72
	scratch_store_b128 off, v[14:17], off offset:96
	s_waitcnt vmcnt(16)
	scratch_store_b128 off, v[126:129], off offset:152 ; 16-byte Folded Spill
	s_waitcnt vmcnt(15)
	scratch_store_b128 off, v[18:21], off offset:168 ; 16-byte Folded Spill
	v_cmp_gt_u16_e32 vcc_lo, 55, v0
	scratch_store_b128 off, v[122:125], off offset:112 ; 16-byte Folded Spill
	s_waitcnt vmcnt(14)
	scratch_store_b128 off, v[28:31], off offset:136 ; 16-byte Folded Spill
	s_waitcnt vmcnt(13)
	;; [unrolled: 2-line block ×4, first 2 shown]
	v_mul_f64 v[82:83], v[44:45], v[6:7]
	v_mul_f64 v[84:85], v[42:43], v[6:7]
	s_waitcnt vmcnt(10)
	v_mul_f64 v[86:87], v[48:49], v[128:129]
	v_mul_f64 v[88:89], v[46:47], v[128:129]
	s_waitcnt vmcnt(9)
	;; [unrolled: 3-line block ×6, first 2 shown]
	v_mul_f64 v[106:107], v[68:69], v[20:21]
	v_mul_f64 v[108:109], v[66:67], v[20:21]
	v_fma_f64 v[42:43], v[42:43], v[4:5], v[82:83]
	s_waitcnt vmcnt(4)
	v_mul_f64 v[110:111], v[72:73], v[24:25]
	v_mul_f64 v[112:113], v[70:71], v[24:25]
	s_waitcnt vmcnt(2)
	v_mul_f64 v[114:115], v[76:77], v[34:35]
	v_mul_f64 v[116:117], v[74:75], v[34:35]
	;; [unrolled: 3-line block ×3, first 2 shown]
	v_fma_f64 v[44:45], v[44:45], v[4:5], -v[84:85]
	v_fma_f64 v[46:47], v[46:47], v[126:127], v[86:87]
	v_fma_f64 v[48:49], v[48:49], v[126:127], -v[88:89]
	s_clause 0x1
	scratch_store_b128 off, v[32:35], off offset:216
	scratch_store_b128 off, v[36:39], off offset:232
	v_fma_f64 v[50:51], v[50:51], v[14:15], v[90:91]
	v_fma_f64 v[52:53], v[52:53], v[14:15], -v[92:93]
	v_fma_f64 v[54:55], v[54:55], v[28:29], v[94:95]
	v_fma_f64 v[56:57], v[56:57], v[28:29], -v[96:97]
	s_load_b64 s[8:9], s[0:1], 0x38
	s_load_b128 s[4:7], s[6:7], 0x0
	v_fma_f64 v[58:59], v[58:59], v[122:123], v[98:99]
	v_fma_f64 v[60:61], v[60:61], v[122:123], -v[100:101]
	v_fma_f64 v[62:63], v[62:63], v[130:131], v[102:103]
	v_fma_f64 v[64:65], v[64:65], v[130:131], -v[104:105]
	v_fma_f64 v[66:67], v[66:67], v[18:19], v[106:107]
	v_fma_f64 v[68:69], v[68:69], v[18:19], -v[108:109]
	ds_store_b128 v201, v[42:45]
	ds_store_b128 v201, v[50:53] offset:1760
	ds_store_b128 v201, v[54:57] offset:11440
	;; [unrolled: 1-line block ×5, first 2 shown]
	v_fma_f64 v[74:75], v[74:75], v[32:33], v[114:115]
	v_fma_f64 v[76:77], v[76:77], v[32:33], -v[116:117]
	v_fma_f64 v[70:71], v[70:71], v[22:23], v[110:111]
	v_fma_f64 v[72:73], v[72:73], v[22:23], -v[112:113]
	;; [unrolled: 2-line block ×3, first 2 shown]
	ds_store_b128 v201, v[46:49] offset:9680
	ds_store_b128 v201, v[74:77] offset:7040
	;; [unrolled: 1-line block ×4, first 2 shown]
	s_and_saveexec_b32 s12, vcc_lo
	s_cbranch_execz .LBB0_3
; %bb.2:
	v_add_co_u32 v40, s2, v40, s2
	s_delay_alu instid0(VALU_DEP_1) | instskip(NEXT) | instid1(VALU_DEP_2)
	v_add_co_ci_u32_e64 v41, s2, s3, v41, s2
	v_add_co_u32 v52, s2, v40, s10
	s_delay_alu instid0(VALU_DEP_1)
	v_add_co_ci_u32_e64 v53, s2, s11, v41, s2
	global_load_b128 v[40:43], v[40:41], off
	scratch_load_b64 v[0:1], off, off offset:88 ; 8-byte Folded Reload
	s_waitcnt vmcnt(0)
	s_clause 0x1
	global_load_b128 v[44:47], v[0:1], off offset:608
	global_load_b128 v[48:51], v[10:11], off offset:2096
	global_load_b128 v[52:55], v[52:53], off
	s_waitcnt vmcnt(2)
	v_mul_f64 v[56:57], v[42:43], v[46:47]
	v_mul_f64 v[46:47], v[40:41], v[46:47]
	s_waitcnt vmcnt(0)
	v_mul_f64 v[58:59], v[54:55], v[50:51]
	v_mul_f64 v[50:51], v[52:53], v[50:51]
	s_delay_alu instid0(VALU_DEP_4) | instskip(NEXT) | instid1(VALU_DEP_4)
	v_fma_f64 v[40:41], v[40:41], v[44:45], v[56:57]
	v_fma_f64 v[42:43], v[42:43], v[44:45], -v[46:47]
	s_delay_alu instid0(VALU_DEP_4) | instskip(NEXT) | instid1(VALU_DEP_4)
	v_fma_f64 v[44:45], v[52:53], v[48:49], v[58:59]
	v_fma_f64 v[46:47], v[54:55], v[48:49], -v[50:51]
	ds_store_b128 v201, v[40:43] offset:8800
	ds_store_b128 v201, v[44:47] offset:18480
.LBB0_3:
	s_or_b32 exec_lo, exec_lo, s12
	s_waitcnt lgkmcnt(0)
	s_waitcnt_vscnt null, 0x0
	s_barrier
	buffer_gl0_inv
	ds_load_b128 v[40:43], v201
	ds_load_b128 v[44:47], v201 offset:1760
	ds_load_b128 v[80:83], v201 offset:11440
	;; [unrolled: 1-line block ×9, first 2 shown]
                                        ; implicit-def: $vgpr60_vgpr61
                                        ; implicit-def: $vgpr68_vgpr69
	s_and_saveexec_b32 s2, vcc_lo
	s_cbranch_execz .LBB0_5
; %bb.4:
	ds_load_b128 v[60:63], v201 offset:8800
	ds_load_b128 v[68:71], v201 offset:18480
.LBB0_5:
	s_or_b32 exec_lo, exec_lo, s2
	s_waitcnt lgkmcnt(3)
	v_add_f64 v[84:85], v[40:41], -v[84:85]
	v_add_f64 v[86:87], v[42:43], -v[86:87]
	s_waitcnt lgkmcnt(0)
	v_add_f64 v[64:65], v[56:57], -v[64:65]
	v_add_f64 v[66:67], v[58:59], -v[66:67]
	;; [unrolled: 1-line block ×10, first 2 shown]
	s_load_b64 s[2:3], s[0:1], 0x8
	v_lshlrev_b16 v0, 1, v3
	v_add_co_u32 v117, null, 0x6e, v3
	v_add_co_u32 v116, null, 0xdc, v3
	s_delay_alu instid0(VALU_DEP_3) | instskip(SKIP_3) | instid1(VALU_DEP_4)
	v_and_b32_e32 v0, 0xffff, v0
	v_add_co_u32 v1, null, 0x226, v3
	v_lshlrev_b32_e32 v6, 5, v3
	v_lshlrev_b32_e32 v4, 5, v117
	;; [unrolled: 1-line block ×5, first 2 shown]
	s_waitcnt lgkmcnt(0)
	s_barrier
	buffer_gl0_inv
	s_clause 0x1
	scratch_store_b32 off, v2, off offset:324
	scratch_store_b32 off, v0, off offset:316
	v_fma_f64 v[40:41], v[40:41], 2.0, -v[84:85]
	v_fma_f64 v[42:43], v[42:43], 2.0, -v[86:87]
	;; [unrolled: 1-line block ×12, first 2 shown]
	ds_store_b128 v2, v[40:43]
	ds_store_b128 v2, v[84:87] offset:16
	ds_store_b128 v4, v[44:47]
	scratch_store_b32 off, v4, off offset:328 ; 4-byte Folded Spill
	ds_store_b128 v4, v[80:83] offset:16
	ds_store_b128 v5, v[52:55]
	scratch_store_b32 off, v5, off offset:332 ; 4-byte Folded Spill
	ds_store_b128 v5, v[76:79] offset:16
	ds_store_b128 v6, v[48:51] offset:10560
	;; [unrolled: 1-line block ×4, first 2 shown]
	scratch_store_b32 off, v6, off offset:336 ; 4-byte Folded Spill
	ds_store_b128 v6, v[64:67] offset:14096
	s_and_saveexec_b32 s0, vcc_lo
	s_cbranch_execz .LBB0_7
; %bb.6:
	scratch_load_b32 v0, off, off offset:316 ; 4-byte Folded Reload
	s_waitcnt vmcnt(0)
	ds_store_b128 v0, v[56:59]
	ds_store_b128 v0, v[68:71] offset:16
.LBB0_7:
	s_or_b32 exec_lo, exec_lo, s0
	s_waitcnt lgkmcnt(0)
	s_waitcnt_vscnt null, 0x0
	s_barrier
	buffer_gl0_inv
	ds_load_b128 v[64:67], v201
	ds_load_b128 v[60:63], v201 offset:1760
	ds_load_b128 v[88:91], v201 offset:3872
	;; [unrolled: 1-line block ×9, first 2 shown]
	v_cmp_gt_u16_e64 s0, 22, v3
                                        ; implicit-def: $vgpr104_vgpr105
                                        ; implicit-def: $vgpr108_vgpr109
                                        ; implicit-def: $vgpr112_vgpr113
	s_delay_alu instid0(VALU_DEP_1)
	s_and_saveexec_b32 s1, s0
	s_cbranch_execz .LBB0_9
; %bb.8:
	ds_load_b128 v[56:59], v201 offset:3520
	ds_load_b128 v[68:71], v201 offset:7392
	;; [unrolled: 1-line block ×5, first 2 shown]
.LBB0_9:
	s_or_b32 exec_lo, exec_lo, s1
	v_and_b32_e32 v2, 1, v3
	scratch_store_b64 off, v[10:11], off offset:128 ; 8-byte Folded Spill
	s_mov_b32 s12, 0x134454ff
	s_mov_b32 s13, 0x3fee6f0e
	;; [unrolled: 1-line block ×3, first 2 shown]
	v_lshlrev_b32_e32 v0, 6, v2
	s_mov_b32 s16, s12
	s_mov_b32 s10, 0x4755a5e
	;; [unrolled: 1-line block ×4, first 2 shown]
	s_clause 0x3
	global_load_b128 v[40:43], v0, s[2:3]
	global_load_b128 v[52:55], v0, s[2:3] offset:16
	global_load_b128 v[48:51], v0, s[2:3] offset:32
	;; [unrolled: 1-line block ×3, first 2 shown]
	s_mov_b32 s14, s10
	v_lshrrev_b32_e32 v0, 1, v3
	v_lshrrev_b32_e32 v1, 1, v117
	s_delay_alu instid0(VALU_DEP_2) | instskip(NEXT) | instid1(VALU_DEP_2)
	v_mul_u32_u24_e32 v0, 10, v0
	v_mul_u32_u24_e32 v1, 10, v1
	s_delay_alu instid0(VALU_DEP_2) | instskip(NEXT) | instid1(VALU_DEP_2)
	v_or_b32_e32 v0, v0, v2
	v_or_b32_e32 v1, v1, v2
	s_delay_alu instid0(VALU_DEP_2) | instskip(NEXT) | instid1(VALU_DEP_2)
	v_lshlrev_b32_e32 v213, 4, v0
	v_lshlrev_b32_e32 v0, 4, v1
	s_waitcnt vmcnt(3) lgkmcnt(7)
	v_mul_f64 v[118:119], v[90:91], v[42:43]
	s_waitcnt vmcnt(2) lgkmcnt(5)
	v_mul_f64 v[120:121], v[94:95], v[54:55]
	;; [unrolled: 2-line block ×4, first 2 shown]
	v_mul_f64 v[126:127], v[92:93], v[54:55]
	v_mul_f64 v[128:129], v[96:97], v[50:51]
	;; [unrolled: 1-line block ×5, first 2 shown]
	s_waitcnt lgkmcnt(0)
	v_mul_f64 v[140:141], v[86:87], v[46:47]
	v_mul_f64 v[142:143], v[76:77], v[54:55]
	;; [unrolled: 1-line block ×15, first 2 shown]
	v_fma_f64 v[118:119], v[88:89], v[40:41], -v[118:119]
	v_fma_f64 v[120:121], v[92:93], v[52:53], -v[120:121]
	;; [unrolled: 1-line block ×4, first 2 shown]
	v_fma_f64 v[122:123], v[94:95], v[52:53], v[126:127]
	v_fma_f64 v[98:99], v[98:99], v[48:49], v[128:129]
	;; [unrolled: 1-line block ×3, first 2 shown]
	v_fma_f64 v[76:77], v[76:77], v[52:53], -v[134:135]
	v_fma_f64 v[80:81], v[80:81], v[48:49], -v[136:137]
	;; [unrolled: 1-line block ×3, first 2 shown]
	v_fma_f64 v[78:79], v[78:79], v[52:53], v[142:143]
	v_fma_f64 v[82:83], v[82:83], v[48:49], v[144:145]
	;; [unrolled: 1-line block ×4, first 2 shown]
	v_fma_f64 v[86:87], v[104:105], v[52:53], -v[150:151]
	v_fma_f64 v[84:85], v[108:109], v[48:49], -v[152:153]
	;; [unrolled: 1-line block ×4, first 2 shown]
	v_fma_f64 v[92:93], v[106:107], v[52:53], v[158:159]
	v_fma_f64 v[90:91], v[110:111], v[48:49], v[160:161]
	;; [unrolled: 1-line block ×3, first 2 shown]
	v_fma_f64 v[72:73], v[72:73], v[40:41], -v[138:139]
	v_fma_f64 v[94:95], v[70:71], v[40:41], v[162:163]
	v_fma_f64 v[70:71], v[114:115], v[44:45], v[164:165]
	v_add_f64 v[132:133], v[64:65], v[118:119]
	v_add_f64 v[144:145], v[118:119], -v[120:121]
	v_add_f64 v[104:105], v[120:121], v[96:97]
	v_add_f64 v[106:107], v[118:119], v[100:101]
	v_add_f64 v[148:149], v[100:101], -v[96:97]
	v_add_f64 v[108:109], v[122:123], v[98:99]
	v_add_f64 v[140:141], v[122:123], -v[98:99]
	v_add_f64 v[152:153], v[120:121], -v[118:119]
	v_add_f64 v[112:113], v[76:77], v[80:81]
	v_add_f64 v[154:155], v[96:97], -v[100:101]
	v_add_f64 v[118:119], v[118:119], -v[100:101]
	v_add_f64 v[130:131], v[78:79], v[82:83]
	v_add_f64 v[176:177], v[62:63], v[74:75]
	v_add_f64 v[134:135], v[74:75], v[128:129]
	v_add_f64 v[168:169], v[74:75], -v[128:129]
	v_add_f64 v[138:139], v[86:87], v[84:85]
	v_add_f64 v[156:157], v[66:67], v[124:125]
	v_add_f64 v[142:143], v[88:89], v[68:69]
	;; [unrolled: 4-line block ×3, first 2 shown]
	v_add_f64 v[136:137], v[124:125], -v[102:103]
	v_add_f64 v[150:151], v[94:95], v[70:71]
	v_add_f64 v[166:167], v[60:61], v[72:73]
	v_add_f64 v[182:183], v[92:93], -v[90:91]
	v_add_f64 v[158:159], v[120:121], -v[96:97]
	;; [unrolled: 1-line block ×15, first 2 shown]
	v_fma_f64 v[104:105], v[104:105], -0.5, v[64:65]
	v_fma_f64 v[64:65], v[106:107], -0.5, v[64:65]
	v_add_f64 v[106:107], v[80:81], -v[126:127]
	v_fma_f64 v[108:109], v[108:109], -0.5, v[66:67]
	v_add_f64 v[192:193], v[68:69], -v[84:85]
	v_add_f64 v[216:217], v[94:95], -v[92:93]
	v_fma_f64 v[112:113], v[112:113], -0.5, v[60:61]
	v_add_f64 v[218:219], v[70:71], -v[90:91]
	v_add_f64 v[120:121], v[132:133], v[120:121]
	v_fma_f64 v[130:131], v[130:131], -0.5, v[62:63]
	v_add_f64 v[132:133], v[144:145], v[148:149]
	v_fma_f64 v[62:63], v[134:135], -0.5, v[62:63]
	v_add_f64 v[134:135], v[94:95], -v[70:71]
	v_fma_f64 v[138:139], v[138:139], -0.5, v[56:57]
	v_add_f64 v[144:145], v[152:153], v[154:155]
	v_fma_f64 v[142:143], v[142:143], -0.5, v[56:57]
	v_add_f64 v[78:79], v[176:177], v[78:79]
	v_fma_f64 v[146:147], v[146:147], -0.5, v[58:59]
	v_fma_f64 v[66:67], v[110:111], -0.5, v[66:67]
	v_add_f64 v[110:111], v[76:77], -v[80:81]
	v_fma_f64 v[60:61], v[114:115], -0.5, v[60:61]
	v_fma_f64 v[150:151], v[150:151], -0.5, v[58:59]
	v_add_f64 v[114:115], v[128:129], -v[82:83]
	v_add_f64 v[76:77], v[166:167], v[76:77]
	v_add_f64 v[122:123], v[156:157], v[122:123]
	v_add_f64 v[188:189], v[82:83], -v[128:129]
	v_add_f64 v[194:195], v[86:87], -v[88:89]
	;; [unrolled: 1-line block ×5, first 2 shown]
	v_add_f64 v[160:161], v[160:161], v[162:163]
	v_add_f64 v[124:125], v[124:125], v[164:165]
	;; [unrolled: 1-line block ×3, first 2 shown]
	v_fma_f64 v[148:149], v[136:137], s[12:13], v[104:105]
	v_fma_f64 v[104:105], v[136:137], s[16:17], v[104:105]
	;; [unrolled: 1-line block ×8, first 2 shown]
	v_add_f64 v[164:165], v[178:179], v[106:107]
	v_fma_f64 v[224:225], v[72:73], s[16:17], v[130:131]
	v_fma_f64 v[130:131], v[72:73], s[12:13], v[130:131]
	v_add_f64 v[174:175], v[190:191], v[192:193]
	v_add_f64 v[96:97], v[120:121], v[96:97]
	v_fma_f64 v[228:229], v[134:135], s[12:13], v[138:139]
	v_fma_f64 v[138:139], v[134:135], s[16:17], v[138:139]
	;; [unrolled: 1-line block ×14, first 2 shown]
	v_add_f64 v[172:173], v[180:181], v[114:115]
	v_add_f64 v[180:181], v[216:217], v[218:219]
	;; [unrolled: 1-line block ×8, first 2 shown]
	v_fma_f64 v[80:81], v[140:141], s[10:11], v[148:149]
	v_fma_f64 v[82:83], v[140:141], s[14:15], v[104:105]
	;; [unrolled: 1-line block ×22, first 2 shown]
	s_mov_b32 s10, 0x372fe950
	s_mov_b32 s11, 0x3fd3c6ef
	v_fma_f64 v[152:153], v[168:169], s[14:15], v[60:61]
	v_fma_f64 v[168:169], v[184:185], s[14:15], v[234:235]
	v_add_f64 v[60:61], v[96:97], v[100:101]
	v_add_f64 v[62:63], v[98:99], v[102:103]
	;; [unrolled: 1-line block ×4, first 2 shown]
	v_fma_f64 v[96:97], v[132:133], s[10:11], v[80:81]
	v_fma_f64 v[100:101], v[132:133], s[10:11], v[82:83]
	;; [unrolled: 1-line block ×22, first 2 shown]
	scratch_store_b128 off, v[12:15], off   ; 16-byte Folded Spill
	v_fma_f64 v[12:13], v[180:181], s[10:11], v[146:147]
	scratch_store_b128 off, v[4:7], off offset:16 ; 16-byte Folded Spill
	v_lshrrev_b32_e32 v4, 1, v116
	scratch_store_b128 off, v[10:13], off offset:48 ; 16-byte Folded Spill
	v_fma_f64 v[10:11], v[188:189], s[10:11], v[170:171]
	s_clause 0x2
	scratch_store_b128 off, v[8:11], off offset:32
	scratch_store_b32 off, v4, off offset:264
	scratch_store_b32 off, v2, off offset:380
	s_waitcnt_vscnt null, 0x0
	s_barrier
	buffer_gl0_inv
	ds_store_b128 v213, v[60:63]
	ds_store_b128 v213, v[96:99] offset:32
	ds_store_b128 v213, v[104:107] offset:64
	;; [unrolled: 1-line block ×4, first 2 shown]
	ds_store_b128 v0, v[64:67]
	ds_store_b128 v0, v[112:115] offset:32
	ds_store_b128 v0, v[122:125] offset:64
	;; [unrolled: 1-line block ×3, first 2 shown]
	scratch_store_b32 off, v0, off offset:320 ; 4-byte Folded Spill
	ds_store_b128 v0, v[118:121] offset:128
	s_and_saveexec_b32 s1, s0
	s_cbranch_execz .LBB0_11
; %bb.10:
	s_clause 0x1
	scratch_load_b32 v0, off, off offset:264
	scratch_load_b128 v[4:7], off, off offset:16
	v_and_b32_e32 v1, 1, v3
	v_add_f64 v[58:59], v[58:59], v[94:95]
	v_add_f64 v[56:57], v[56:57], v[88:89]
	s_delay_alu instid0(VALU_DEP_2) | instskip(NEXT) | instid1(VALU_DEP_2)
	v_add_f64 v[58:59], v[58:59], v[92:93]
	v_add_f64 v[56:57], v[56:57], v[86:87]
	s_delay_alu instid0(VALU_DEP_2) | instskip(NEXT) | instid1(VALU_DEP_2)
	;; [unrolled: 3-line block ×3, first 2 shown]
	v_add_f64 v[58:59], v[58:59], v[70:71]
	v_add_f64 v[56:57], v[56:57], v[68:69]
	s_waitcnt vmcnt(1)
	v_mul_u32_u24_e32 v0, 10, v0
	s_delay_alu instid0(VALU_DEP_1) | instskip(NEXT) | instid1(VALU_DEP_1)
	v_or_b32_e32 v0, v0, v1
	v_lshlrev_b32_e32 v0, 4, v0
	s_waitcnt vmcnt(0)
	ds_store_b128 v0, v[4:7] offset:64
	scratch_load_b128 v[4:7], off, off offset:32 ; 16-byte Folded Reload
	s_waitcnt vmcnt(0)
	ds_store_b128 v0, v[4:7] offset:96
	ds_store_b128 v0, v[56:59]
	scratch_load_b128 v[4:7], off, off      ; 16-byte Folded Reload
	s_waitcnt vmcnt(0)
	ds_store_b128 v0, v[4:7] offset:32
	scratch_load_b128 v[4:7], off, off offset:48 ; 16-byte Folded Reload
	s_waitcnt vmcnt(0)
	ds_store_b128 v0, v[4:7] offset:128
.LBB0_11:
	s_or_b32 exec_lo, exec_lo, s1
	v_mov_b32_e32 v56, v3
	v_and_b32_e32 v0, 0xff, v3
	s_waitcnt lgkmcnt(0)
	s_waitcnt_vscnt null, 0x0
	s_barrier
	buffer_gl0_inv
	s_mov_b32 s28, 0xf8bb580b
	v_mul_lo_u16 v0, 0xcd, v0
	s_mov_b32 s24, 0x8eee2c13
	s_mov_b32 s22, 0x43842ef
	;; [unrolled: 1-line block ×4, first 2 shown]
	v_lshrrev_b16 v122, 11, v0
	s_mov_b32 s29, 0xbfe14ced
	s_mov_b32 s25, 0xbfed1bb4
	;; [unrolled: 1-line block ×4, first 2 shown]
	v_mul_lo_u16 v0, v122, 10
	s_mov_b32 s19, 0xbfd207e7
	s_mov_b32 s26, 0x8764f0ba
	;; [unrolled: 1-line block ×4, first 2 shown]
	v_sub_nc_u16 v0, v3, v0
	s_mov_b32 s12, 0x7f775887
	s_mov_b32 s10, 0x9bcd5057
	;; [unrolled: 1-line block ×4, first 2 shown]
	v_and_b32_e32 v123, 0xff, v0
	s_mov_b32 s17, 0xbfc2375f
	s_mov_b32 s13, 0xbfe4f49e
	;; [unrolled: 1-line block ×4, first 2 shown]
	v_mad_u64_u32 v[104:105], null, 0xa0, v123, s[2:3]
	s_mov_b32 s38, s18
	s_mov_b32 s37, 0x3fefac9e
	s_mov_b32 s36, s22
	s_mov_b32 s31, 0x3fe14ced
	s_mov_b32 s30, s28
	s_clause 0x3
	global_load_b128 v[8:11], v[104:105], off offset:128
	global_load_b128 v[4:7], v[104:105], off offset:272
	;; [unrolled: 1-line block ×4, first 2 shown]
	ds_load_b128 v[84:87], v201 offset:1760
	ds_load_b128 v[124:127], v201
	ds_load_b128 v[88:91], v201 offset:17600
	s_mov_b32 s35, 0x3fed1bb4
	s_mov_b32 s34, s24
	s_waitcnt vmcnt(3) lgkmcnt(2)
	v_mul_f64 v[94:95], v[84:85], v[10:11]
	v_mul_f64 v[92:93], v[86:87], v[10:11]
	s_waitcnt vmcnt(2) lgkmcnt(0)
	v_mul_f64 v[96:97], v[88:89], v[6:7]
	s_clause 0x1
	scratch_store_b128 off, v[8:11], off offset:268
	scratch_store_b128 off, v[4:7], off offset:248
	v_fma_f64 v[138:139], v[86:87], v[8:9], v[94:95]
	v_mul_f64 v[86:87], v[90:91], v[6:7]
	v_fma_f64 v[136:137], v[84:85], v[8:9], -v[92:93]
	v_fma_f64 v[84:85], v[90:91], v[4:5], v[96:97]
	s_delay_alu instid0(VALU_DEP_4) | instskip(NEXT) | instid1(VALU_DEP_4)
	v_add_f64 v[220:221], v[126:127], v[138:139]
	v_fma_f64 v[86:87], v[88:89], v[4:5], -v[86:87]
	ds_load_b128 v[88:91], v201 offset:3520
	ds_load_b128 v[96:99], v201 offset:5280
	s_waitcnt vmcnt(1)
	scratch_store_b128 off, v[12:15], off offset:284 ; 16-byte Folded Spill
	v_add_f64 v[166:167], v[138:139], v[84:85]
	v_add_f64 v[218:219], v[124:125], v[136:137]
	s_waitcnt lgkmcnt(1)
	v_mul_f64 v[92:93], v[90:91], v[14:15]
	v_add_f64 v[142:143], v[136:137], v[86:87]
	s_delay_alu instid0(VALU_DEP_2) | instskip(SKIP_1) | instid1(VALU_DEP_1)
	v_fma_f64 v[118:119], v[88:89], v[12:13], -v[92:93]
	v_mul_f64 v[88:89], v[88:89], v[14:15]
	v_fma_f64 v[120:121], v[90:91], v[12:13], v[88:89]
	ds_load_b128 v[88:91], v201 offset:15840
	ds_load_b128 v[108:111], v201 offset:14080
	s_waitcnt vmcnt(0)
	scratch_store_b128 off, v[16:19], off offset:300 ; 16-byte Folded Spill
	s_waitcnt lgkmcnt(1)
	v_mul_f64 v[92:93], v[88:89], v[18:19]
	s_delay_alu instid0(VALU_DEP_1)
	v_fma_f64 v[106:107], v[90:91], v[16:17], v[92:93]
	s_clause 0x1
	global_load_b128 v[92:95], v[104:105], off offset:160
	global_load_b128 v[4:7], v[104:105], off offset:176
	v_mul_f64 v[90:91], v[90:91], v[18:19]
	v_add_f64 v[228:229], v[120:121], v[106:107]
	s_delay_alu instid0(VALU_DEP_2) | instskip(NEXT) | instid1(VALU_DEP_1)
	v_fma_f64 v[116:117], v[88:89], v[16:17], -v[90:91]
	v_add_f64 v[222:223], v[118:119], v[116:117]
	v_add_f64 v[226:227], v[118:119], -v[116:117]
	s_delay_alu instid0(VALU_DEP_1) | instskip(SKIP_1) | instid1(VALU_DEP_1)
	v_mul_f64 v[230:231], v[226:227], s[24:25]
	v_mul_f64 v[20:21], v[226:227], s[38:39]
	v_fma_f64 v[22:23], v[228:229], s[10:11], v[20:21]
	v_fma_f64 v[20:21], v[228:229], s[10:11], -v[20:21]
	s_waitcnt vmcnt(1)
	v_mul_f64 v[100:101], v[98:99], v[94:95]
	s_delay_alu instid0(VALU_DEP_1) | instskip(SKIP_1) | instid1(VALU_DEP_1)
	v_fma_f64 v[168:169], v[96:97], v[92:93], -v[100:101]
	v_mul_f64 v[96:97], v[96:97], v[94:95]
	v_fma_f64 v[170:171], v[98:99], v[92:93], v[96:97]
	s_clause 0x1
	global_load_b128 v[100:103], v[104:105], off offset:240
	global_load_b128 v[96:99], v[104:105], off offset:224
	s_waitcnt vmcnt(1) lgkmcnt(0)
	v_mul_f64 v[112:113], v[108:109], v[102:103]
	s_delay_alu instid0(VALU_DEP_1) | instskip(SKIP_1) | instid1(VALU_DEP_2)
	v_fma_f64 v[172:173], v[110:111], v[100:101], v[112:113]
	v_mul_f64 v[110:111], v[110:111], v[102:103]
	v_add_f64 v[232:233], v[170:171], -v[172:173]
	s_delay_alu instid0(VALU_DEP_2)
	v_fma_f64 v[174:175], v[108:109], v[100:101], -v[110:111]
	ds_load_b128 v[108:111], v201 offset:7040
	ds_load_b128 v[128:131], v201 offset:8800
	scratch_store_b128 off, v[4:7], off offset:356 ; 16-byte Folded Spill
	v_add_f64 v[240:241], v[170:171], v[172:173]
	s_waitcnt lgkmcnt(1)
	v_mul_f64 v[112:113], v[110:111], v[6:7]
	v_mul_f64 v[236:237], v[232:233], s[22:23]
	v_add_f64 v[234:235], v[168:169], v[174:175]
	v_add_f64 v[238:239], v[168:169], -v[174:175]
	v_mul_f64 v[8:9], v[232:233], s[38:39]
	v_mul_f64 v[24:25], v[232:233], s[34:35]
	v_fma_f64 v[176:177], v[108:109], v[4:5], -v[112:113]
	v_mul_f64 v[108:109], v[108:109], v[6:7]
	v_mul_f64 v[242:243], v[238:239], s[22:23]
	;; [unrolled: 1-line block ×3, first 2 shown]
	v_fma_f64 v[10:11], v[234:235], s[10:11], -v[8:9]
	v_mul_f64 v[28:29], v[238:239], s[34:35]
	v_fma_f64 v[26:27], v[234:235], s[14:15], -v[24:25]
	v_mul_f64 v[36:37], v[238:239], s[28:29]
	v_fma_f64 v[178:179], v[110:111], v[4:5], v[108:109]
	ds_load_b128 v[108:111], v201 offset:12320
	ds_load_b128 v[132:135], v201 offset:10560
	v_mul_f64 v[4:5], v[226:227], s[20:21]
	v_fma_f64 v[14:15], v[240:241], s[10:11], v[12:13]
	s_waitcnt vmcnt(0) lgkmcnt(1)
	v_mul_f64 v[112:113], v[110:111], v[98:99]
	v_fma_f64 v[30:31], v[240:241], s[14:15], v[28:29]
	v_fma_f64 v[38:39], v[240:241], s[26:27], v[36:37]
	v_fma_f64 v[36:37], v[240:241], s[26:27], -v[36:37]
	v_fma_f64 v[6:7], v[228:229], s[12:13], v[4:5]
	v_fma_f64 v[4:5], v[228:229], s[12:13], -v[4:5]
	v_fma_f64 v[180:181], v[108:109], v[96:97], -v[112:113]
	v_mul_f64 v[108:109], v[108:109], v[98:99]
	s_delay_alu instid0(VALU_DEP_2) | instskip(NEXT) | instid1(VALU_DEP_2)
	v_add_f64 v[246:247], v[176:177], v[180:181]
	v_fma_f64 v[182:183], v[110:111], v[96:97], v[108:109]
	s_clause 0x1
	global_load_b128 v[112:115], v[104:105], off offset:192
	global_load_b128 v[108:111], v[104:105], off offset:208
	v_add_f64 v[250:251], v[176:177], -v[180:181]
	s_waitcnt vmcnt(0) lgkmcnt(0)
	s_waitcnt_vscnt null, 0x0
	s_barrier
	buffer_gl0_inv
	v_add_f64 v[244:245], v[178:179], -v[182:183]
	v_add_f64 v[252:253], v[178:179], v[182:183]
	v_mul_f64 v[254:255], v[250:251], s[20:21]
	v_mul_f64 v[16:17], v[250:251], s[36:37]
	;; [unrolled: 1-line block ×6, first 2 shown]
	v_fma_f64 v[18:19], v[252:253], s[16:17], v[16:17]
	v_fma_f64 v[34:35], v[252:253], s[26:27], v[32:33]
	;; [unrolled: 1-line block ×3, first 2 shown]
	v_mul_f64 v[104:105], v[130:131], v[114:115]
	s_delay_alu instid0(VALU_DEP_1) | instskip(SKIP_1) | instid1(VALU_DEP_1)
	v_fma_f64 v[104:105], v[128:129], v[112:113], -v[104:105]
	v_mul_f64 v[128:129], v[128:129], v[114:115]
	v_fma_f64 v[184:185], v[130:131], v[112:113], v[128:129]
	v_mul_f64 v[128:129], v[134:135], v[110:111]
	s_delay_alu instid0(VALU_DEP_1) | instskip(SKIP_1) | instid1(VALU_DEP_2)
	v_fma_f64 v[186:187], v[132:133], v[108:109], -v[128:129]
	v_mul_f64 v[128:129], v[132:133], v[110:111]
	v_add_f64 v[198:199], v[104:105], -v[186:187]
	s_delay_alu instid0(VALU_DEP_2) | instskip(SKIP_2) | instid1(VALU_DEP_4)
	v_fma_f64 v[188:189], v[134:135], v[108:109], v[128:129]
	v_add_f64 v[128:129], v[138:139], -v[84:85]
	v_add_f64 v[209:210], v[104:105], v[186:187]
	v_mul_f64 v[0:1], v[198:199], s[18:19]
	s_delay_alu instid0(VALU_DEP_4) | instskip(NEXT) | instid1(VALU_DEP_4)
	v_add_f64 v[206:207], v[184:185], -v[188:189]
	v_mul_f64 v[130:131], v[128:129], s[28:29]
	v_mul_f64 v[132:133], v[128:129], s[24:25]
	;; [unrolled: 1-line block ×5, first 2 shown]
	v_add_f64 v[202:203], v[184:185], v[188:189]
	v_mul_f64 v[76:77], v[198:199], s[34:35]
	v_mul_f64 v[196:197], v[206:207], s[18:19]
	v_fma_f64 v[144:145], v[142:143], s[26:27], -v[130:131]
	v_fma_f64 v[130:131], v[142:143], s[26:27], v[130:131]
	v_fma_f64 v[146:147], v[142:143], s[14:15], -v[132:133]
	v_fma_f64 v[132:133], v[142:143], s[14:15], v[132:133]
	;; [unrolled: 2-line block ×5, first 2 shown]
	v_add_f64 v[142:143], v[136:137], -v[86:87]
	v_fma_f64 v[2:3], v[202:203], s[10:11], -v[0:1]
	v_fma_f64 v[78:79], v[202:203], s[14:15], v[76:77]
	v_fma_f64 v[0:1], v[202:203], s[10:11], v[0:1]
	v_add_f64 v[130:131], v[124:125], v[130:131]
	v_add_f64 v[138:139], v[124:125], v[146:147]
	v_mul_f64 v[158:159], v[142:143], s[28:29]
	v_mul_f64 v[160:161], v[142:143], s[24:25]
	;; [unrolled: 1-line block ×5, first 2 shown]
	v_fma_f64 v[190:191], v[166:167], s[26:27], v[158:159]
	v_fma_f64 v[158:159], v[166:167], s[26:27], -v[158:159]
	v_fma_f64 v[194:195], v[166:167], s[16:17], v[162:163]
	v_fma_f64 v[192:193], v[166:167], s[14:15], v[160:161]
	;; [unrolled: 1-line block ×3, first 2 shown]
	v_fma_f64 v[142:143], v[166:167], s[10:11], -v[142:143]
	v_fma_f64 v[214:215], v[166:167], s[12:13], v[164:165]
	v_fma_f64 v[160:161], v[166:167], s[14:15], -v[160:161]
	v_fma_f64 v[162:163], v[166:167], s[16:17], -v[162:163]
	;; [unrolled: 1-line block ×3, first 2 shown]
	v_add_f64 v[166:167], v[124:125], v[144:145]
	v_add_f64 v[190:191], v[126:127], v[190:191]
	;; [unrolled: 1-line block ×8, first 2 shown]
	v_add_f64 v[142:143], v[120:121], -v[106:107]
	v_add_f64 v[144:145], v[126:127], v[192:193]
	v_add_f64 v[192:193], v[124:125], v[132:133]
	;; [unrolled: 1-line block ×10, first 2 shown]
	v_fma_f64 v[126:127], v[228:229], s[14:15], -v[230:231]
	v_fma_f64 v[128:129], v[234:235], s[16:17], v[236:237]
	v_add_f64 v[22:23], v[22:23], v[146:147]
	v_mul_f64 v[146:147], v[232:233], s[20:21]
	v_mul_f64 v[224:225], v[142:143], s[24:25]
	v_add_f64 v[6:7], v[6:7], v[144:145]
	v_add_f64 v[4:5], v[4:5], v[160:161]
	;; [unrolled: 1-line block ×5, first 2 shown]
	v_mul_f64 v[30:31], v[244:245], s[28:29]
	v_fma_f64 v[124:125], v[222:223], s[14:15], v[224:225]
	v_add_f64 v[6:7], v[14:15], v[6:7]
	v_mul_f64 v[14:15], v[244:245], s[36:37]
	v_add_f64 v[22:23], v[34:35], v[22:23]
	v_mul_f64 v[34:35], v[206:207], s[20:21]
	v_add_f64 v[124:125], v[124:125], v[130:131]
	v_add_f64 v[6:7], v[18:19], v[6:7]
	v_mul_f64 v[18:19], v[206:207], s[30:31]
	s_delay_alu instid0(VALU_DEP_3) | instskip(SKIP_1) | instid1(VALU_DEP_1)
	v_add_f64 v[124:125], v[128:129], v[124:125]
	v_fma_f64 v[128:129], v[240:241], s[16:17], -v[242:243]
	v_add_f64 v[126:127], v[128:129], v[126:127]
	v_fma_f64 v[128:129], v[246:247], s[12:13], v[248:249]
	s_delay_alu instid0(VALU_DEP_1) | instskip(SKIP_1) | instid1(VALU_DEP_1)
	v_add_f64 v[124:125], v[128:129], v[124:125]
	v_fma_f64 v[128:129], v[252:253], s[12:13], -v[254:255]
	v_add_f64 v[126:127], v[128:129], v[126:127]
	v_fma_f64 v[128:129], v[209:210], s[10:11], v[196:197]
	s_delay_alu instid0(VALU_DEP_2) | instskip(SKIP_1) | instid1(VALU_DEP_3)
	v_add_f64 v[126:127], v[2:3], v[126:127]
	v_mul_f64 v[2:3], v[142:143], s[20:21]
	v_add_f64 v[124:125], v[128:129], v[124:125]
	s_delay_alu instid0(VALU_DEP_2) | instskip(SKIP_1) | instid1(VALU_DEP_2)
	v_fma_f64 v[128:129], v[222:223], s[12:13], -v[2:3]
	v_fma_f64 v[2:3], v[222:223], s[12:13], v[2:3]
	v_add_f64 v[128:129], v[128:129], v[138:139]
	s_delay_alu instid0(VALU_DEP_2) | instskip(NEXT) | instid1(VALU_DEP_2)
	v_add_f64 v[2:3], v[2:3], v[192:193]
	v_add_f64 v[10:11], v[10:11], v[128:129]
	v_fma_f64 v[128:129], v[246:247], s[16:17], -v[14:15]
	s_delay_alu instid0(VALU_DEP_1) | instskip(SKIP_1) | instid1(VALU_DEP_1)
	v_add_f64 v[10:11], v[128:129], v[10:11]
	v_fma_f64 v[128:129], v[209:210], s[26:27], -v[18:19]
	v_add_f64 v[128:129], v[128:129], v[10:11]
	v_mul_f64 v[10:11], v[198:199], s[30:31]
	s_delay_alu instid0(VALU_DEP_1) | instskip(NEXT) | instid1(VALU_DEP_1)
	v_fma_f64 v[130:131], v[202:203], s[26:27], v[10:11]
	v_add_f64 v[130:131], v[130:131], v[6:7]
	v_mul_f64 v[6:7], v[142:143], s[38:39]
	s_delay_alu instid0(VALU_DEP_1) | instskip(SKIP_1) | instid1(VALU_DEP_2)
	v_fma_f64 v[134:135], v[222:223], s[10:11], -v[6:7]
	v_fma_f64 v[6:7], v[222:223], s[10:11], v[6:7]
	v_add_f64 v[132:133], v[134:135], v[132:133]
	s_delay_alu instid0(VALU_DEP_2) | instskip(NEXT) | instid1(VALU_DEP_2)
	v_add_f64 v[6:7], v[6:7], v[158:159]
	v_add_f64 v[26:27], v[26:27], v[132:133]
	v_fma_f64 v[132:133], v[246:247], s[26:27], -v[30:31]
	s_delay_alu instid0(VALU_DEP_1) | instskip(SKIP_1) | instid1(VALU_DEP_1)
	v_add_f64 v[26:27], v[132:133], v[26:27]
	v_fma_f64 v[132:133], v[209:210], s[12:13], -v[34:35]
	v_add_f64 v[132:133], v[132:133], v[26:27]
	v_mul_f64 v[26:27], v[198:199], s[20:21]
	v_mul_f64 v[198:199], v[198:199], s[22:23]
	s_delay_alu instid0(VALU_DEP_2) | instskip(NEXT) | instid1(VALU_DEP_1)
	v_fma_f64 v[134:135], v[202:203], s[12:13], v[26:27]
	v_add_f64 v[134:135], v[134:135], v[22:23]
	v_mul_f64 v[22:23], v[142:143], s[36:37]
	s_delay_alu instid0(VALU_DEP_1) | instskip(SKIP_1) | instid1(VALU_DEP_2)
	v_fma_f64 v[136:137], v[222:223], s[16:17], -v[22:23]
	v_fma_f64 v[22:23], v[222:223], s[16:17], v[22:23]
	v_add_f64 v[136:137], v[136:137], v[152:153]
	v_mul_f64 v[152:153], v[226:227], s[36:37]
	s_delay_alu instid0(VALU_DEP_3) | instskip(NEXT) | instid1(VALU_DEP_2)
	v_add_f64 v[22:23], v[22:23], v[194:195]
	v_fma_f64 v[138:139], v[228:229], s[16:17], v[152:153]
	s_delay_alu instid0(VALU_DEP_1) | instskip(SKIP_2) | instid1(VALU_DEP_3)
	v_add_f64 v[138:139], v[138:139], v[154:155]
	v_mul_f64 v[154:155], v[232:233], s[28:29]
	v_mul_f64 v[232:233], v[250:251], s[34:35]
	v_add_f64 v[38:39], v[38:39], v[138:139]
	s_delay_alu instid0(VALU_DEP_3) | instskip(SKIP_1) | instid1(VALU_DEP_3)
	v_fma_f64 v[144:145], v[234:235], s[26:27], -v[154:155]
	v_fma_f64 v[138:139], v[246:247], s[10:11], -v[211:212]
	v_add_f64 v[38:39], v[74:75], v[38:39]
	s_delay_alu instid0(VALU_DEP_3)
	v_add_f64 v[136:137], v[144:145], v[136:137]
	v_mul_f64 v[74:75], v[206:207], s[34:35]
	v_mul_f64 v[144:145], v[226:227], s[30:31]
	;; [unrolled: 1-line block ×4, first 2 shown]
	v_add_f64 v[136:137], v[138:139], v[136:137]
	v_fma_f64 v[138:139], v[209:210], s[14:15], -v[74:75]
	s_delay_alu instid0(VALU_DEP_1) | instskip(SKIP_3) | instid1(VALU_DEP_2)
	v_add_f64 v[136:137], v[138:139], v[136:137]
	v_add_f64 v[138:139], v[78:79], v[38:39]
	v_mul_f64 v[38:39], v[142:143], s[30:31]
	v_fma_f64 v[142:143], v[234:235], s[12:13], -v[146:147]
	v_fma_f64 v[78:79], v[222:223], s[26:27], -v[38:39]
	v_fma_f64 v[38:39], v[222:223], s[26:27], v[38:39]
	s_delay_alu instid0(VALU_DEP_2) | instskip(SKIP_1) | instid1(VALU_DEP_3)
	v_add_f64 v[78:79], v[78:79], v[140:141]
	v_fma_f64 v[140:141], v[228:229], s[26:27], v[144:145]
	v_add_f64 v[38:39], v[38:39], v[214:215]
	s_delay_alu instid0(VALU_DEP_3) | instskip(NEXT) | instid1(VALU_DEP_3)
	v_add_f64 v[78:79], v[142:143], v[78:79]
	v_add_f64 v[140:141], v[140:141], v[156:157]
	v_mul_f64 v[156:157], v[238:239], s[20:21]
	s_delay_alu instid0(VALU_DEP_1) | instskip(NEXT) | instid1(VALU_DEP_1)
	v_fma_f64 v[142:143], v[240:241], s[12:13], v[156:157]
	v_add_f64 v[140:141], v[142:143], v[140:141]
	v_fma_f64 v[142:143], v[246:247], s[14:15], -v[226:227]
	s_delay_alu instid0(VALU_DEP_1) | instskip(SKIP_1) | instid1(VALU_DEP_1)
	v_add_f64 v[78:79], v[142:143], v[78:79]
	v_fma_f64 v[142:143], v[252:253], s[14:15], v[232:233]
	v_add_f64 v[142:143], v[142:143], v[140:141]
	v_fma_f64 v[140:141], v[209:210], s[16:17], -v[206:207]
	s_delay_alu instid0(VALU_DEP_1) | instskip(SKIP_1) | instid1(VALU_DEP_1)
	v_add_f64 v[140:141], v[140:141], v[78:79]
	v_fma_f64 v[78:79], v[202:203], s[16:17], v[198:199]
	v_add_f64 v[142:143], v[78:79], v[142:143]
	v_fma_f64 v[78:79], v[228:229], s[26:27], -v[144:145]
	v_fma_f64 v[144:145], v[234:235], s[12:13], v[146:147]
	v_fma_f64 v[146:147], v[202:203], s[16:17], -v[198:199]
	s_delay_alu instid0(VALU_DEP_3) | instskip(NEXT) | instid1(VALU_DEP_3)
	v_add_f64 v[78:79], v[78:79], v[216:217]
	v_add_f64 v[38:39], v[144:145], v[38:39]
	v_fma_f64 v[144:145], v[240:241], s[12:13], -v[156:157]
	s_delay_alu instid0(VALU_DEP_1) | instskip(SKIP_1) | instid1(VALU_DEP_1)
	v_add_f64 v[78:79], v[144:145], v[78:79]
	v_fma_f64 v[144:145], v[246:247], s[14:15], v[226:227]
	v_add_f64 v[38:39], v[144:145], v[38:39]
	v_fma_f64 v[144:145], v[252:253], s[14:15], -v[232:233]
	s_delay_alu instid0(VALU_DEP_1) | instskip(SKIP_1) | instid1(VALU_DEP_2)
	v_add_f64 v[78:79], v[144:145], v[78:79]
	v_fma_f64 v[144:145], v[209:210], s[16:17], v[206:207]
	v_add_f64 v[146:147], v[146:147], v[78:79]
	s_delay_alu instid0(VALU_DEP_2) | instskip(SKIP_2) | instid1(VALU_DEP_2)
	v_add_f64 v[144:145], v[144:145], v[38:39]
	v_fma_f64 v[38:39], v[228:229], s[16:17], -v[152:153]
	v_fma_f64 v[78:79], v[234:235], s[26:27], v[154:155]
	v_add_f64 v[38:39], v[38:39], v[164:165]
	s_delay_alu instid0(VALU_DEP_2) | instskip(NEXT) | instid1(VALU_DEP_2)
	v_add_f64 v[22:23], v[78:79], v[22:23]
	v_add_f64 v[36:37], v[36:37], v[38:39]
	v_fma_f64 v[38:39], v[246:247], s[10:11], v[211:212]
	s_delay_alu instid0(VALU_DEP_1) | instskip(SKIP_2) | instid1(VALU_DEP_2)
	v_add_f64 v[22:23], v[38:39], v[22:23]
	v_fma_f64 v[38:39], v[252:253], s[10:11], -v[72:73]
	v_fma_f64 v[72:73], v[202:203], s[14:15], -v[76:77]
	v_add_f64 v[36:37], v[38:39], v[36:37]
	v_fma_f64 v[38:39], v[209:210], s[14:15], v[74:75]
	s_delay_alu instid0(VALU_DEP_2) | instskip(NEXT) | instid1(VALU_DEP_2)
	v_add_f64 v[154:155], v[72:73], v[36:37]
	v_add_f64 v[152:153], v[38:39], v[22:23]
	v_fma_f64 v[22:23], v[234:235], s[14:15], v[24:25]
	v_fma_f64 v[24:25], v[202:203], s[12:13], -v[26:27]
	s_delay_alu instid0(VALU_DEP_2) | instskip(SKIP_1) | instid1(VALU_DEP_1)
	v_add_f64 v[6:7], v[22:23], v[6:7]
	v_fma_f64 v[22:23], v[240:241], s[14:15], -v[28:29]
	v_add_f64 v[20:21], v[22:23], v[20:21]
	v_fma_f64 v[22:23], v[246:247], s[26:27], v[30:31]
	s_delay_alu instid0(VALU_DEP_1) | instskip(SKIP_1) | instid1(VALU_DEP_1)
	v_add_f64 v[6:7], v[22:23], v[6:7]
	v_fma_f64 v[22:23], v[252:253], s[26:27], -v[32:33]
	v_add_f64 v[20:21], v[22:23], v[20:21]
	v_fma_f64 v[22:23], v[209:210], s[12:13], v[34:35]
	s_delay_alu instid0(VALU_DEP_2) | instskip(NEXT) | instid1(VALU_DEP_2)
	v_add_f64 v[158:159], v[24:25], v[20:21]
	v_add_f64 v[156:157], v[22:23], v[6:7]
	v_fma_f64 v[6:7], v[234:235], s[10:11], v[8:9]
	v_fma_f64 v[8:9], v[202:203], s[26:27], -v[10:11]
	v_fma_f64 v[10:11], v[246:247], s[12:13], -v[248:249]
	s_delay_alu instid0(VALU_DEP_3) | instskip(SKIP_3) | instid1(VALU_DEP_3)
	v_add_f64 v[2:3], v[6:7], v[2:3]
	v_fma_f64 v[6:7], v[240:241], s[10:11], -v[12:13]
	v_fma_f64 v[12:13], v[252:253], s[12:13], v[254:255]
	v_mov_b32_e32 v255, v56
	v_add_f64 v[4:5], v[6:7], v[4:5]
	v_fma_f64 v[6:7], v[246:247], s[16:17], v[14:15]
	s_delay_alu instid0(VALU_DEP_1) | instskip(SKIP_1) | instid1(VALU_DEP_1)
	v_add_f64 v[2:3], v[6:7], v[2:3]
	v_fma_f64 v[6:7], v[252:253], s[16:17], -v[16:17]
	v_add_f64 v[4:5], v[6:7], v[4:5]
	v_fma_f64 v[6:7], v[209:210], s[26:27], v[18:19]
	s_delay_alu instid0(VALU_DEP_2) | instskip(NEXT) | instid1(VALU_DEP_2)
	v_add_f64 v[162:163], v[8:9], v[4:5]
	v_add_f64 v[160:161], v[6:7], v[2:3]
	v_fma_f64 v[2:3], v[222:223], s[14:15], -v[224:225]
	v_fma_f64 v[4:5], v[228:229], s[14:15], v[230:231]
	v_fma_f64 v[6:7], v[234:235], s[16:17], -v[236:237]
	v_fma_f64 v[8:9], v[240:241], s[16:17], v[242:243]
	s_delay_alu instid0(VALU_DEP_4) | instskip(NEXT) | instid1(VALU_DEP_4)
	v_add_f64 v[2:3], v[2:3], v[166:167]
	v_add_f64 v[4:5], v[4:5], v[190:191]
	s_delay_alu instid0(VALU_DEP_2) | instskip(NEXT) | instid1(VALU_DEP_2)
	v_add_f64 v[2:3], v[6:7], v[2:3]
	v_add_f64 v[4:5], v[8:9], v[4:5]
	v_fma_f64 v[6:7], v[209:210], s[10:11], -v[196:197]
	s_delay_alu instid0(VALU_DEP_3) | instskip(NEXT) | instid1(VALU_DEP_3)
	v_add_f64 v[2:3], v[10:11], v[2:3]
	v_add_f64 v[4:5], v[12:13], v[4:5]
	s_delay_alu instid0(VALU_DEP_2) | instskip(NEXT) | instid1(VALU_DEP_2)
	v_add_f64 v[164:165], v[6:7], v[2:3]
	v_add_f64 v[166:167], v[0:1], v[4:5]
	;; [unrolled: 1-line block ×4, first 2 shown]
	s_delay_alu instid0(VALU_DEP_2) | instskip(NEXT) | instid1(VALU_DEP_2)
	v_add_f64 v[0:1], v[0:1], v[168:169]
	v_add_f64 v[2:3], v[2:3], v[170:171]
	s_delay_alu instid0(VALU_DEP_2) | instskip(NEXT) | instid1(VALU_DEP_2)
	v_add_f64 v[0:1], v[0:1], v[176:177]
	v_add_f64 v[2:3], v[2:3], v[178:179]
	;; [unrolled: 3-line block ×8, first 2 shown]
	v_and_b32_e32 v0, 0xffff, v122
	s_delay_alu instid0(VALU_DEP_1) | instskip(NEXT) | instid1(VALU_DEP_1)
	v_mul_u32_u24_e32 v0, 0x6e, v0
	v_add_lshl_u32 v214, v0, v123, 4
	ds_store_b128 v214, v[128:131] offset:320
	ds_store_b128 v214, v[132:135] offset:480
	;; [unrolled: 1-line block ×10, first 2 shown]
	ds_store_b128 v214, v[104:107]
	v_mad_u64_u32 v[140:141], null, 0xa0, v255, s[2:3]
	s_waitcnt lgkmcnt(0)
	s_barrier
	buffer_gl0_inv
	ds_load_b128 v[116:119], v201 offset:1760
	ds_load_b128 v[215:218], v201
	s_clause 0x1
	global_load_b128 v[4:7], v[140:141], off offset:1728
	global_load_b128 v[104:107], v[140:141], off offset:1744
	s_waitcnt vmcnt(1) lgkmcnt(1)
	v_mul_f64 v[0:1], v[118:119], v[6:7]
	v_mul_f64 v[2:3], v[116:117], v[6:7]
	scratch_store_b128 off, v[4:7], off offset:340 ; 16-byte Folded Spill
	v_fma_f64 v[0:1], v[116:117], v[4:5], -v[0:1]
	v_fma_f64 v[2:3], v[118:119], v[4:5], v[2:3]
	s_clause 0x1
	global_load_b128 v[120:123], v[140:141], off offset:1872
	global_load_b128 v[116:119], v[140:141], off offset:1856
	ds_load_b128 v[124:127], v201 offset:17600
	s_waitcnt lgkmcnt(1)
	v_add_f64 v[190:191], v[217:218], v[2:3]
	s_waitcnt vmcnt(1) lgkmcnt(0)
	v_mul_f64 v[4:5], v[124:125], v[122:123]
	s_delay_alu instid0(VALU_DEP_1) | instskip(SKIP_1) | instid1(VALU_DEP_2)
	v_fma_f64 v[152:153], v[126:127], v[120:121], v[4:5]
	v_mul_f64 v[4:5], v[126:127], v[122:123]
	v_add_f64 v[34:35], v[2:3], v[152:153]
	s_delay_alu instid0(VALU_DEP_2)
	v_fma_f64 v[154:155], v[124:125], v[120:121], -v[4:5]
	ds_load_b128 v[124:127], v201 offset:3520
	ds_load_b128 v[132:135], v201 offset:5280
	s_waitcnt lgkmcnt(1)
	v_mul_f64 v[4:5], v[126:127], v[106:107]
	v_add_f64 v[14:15], v[0:1], v[154:155]
	s_delay_alu instid0(VALU_DEP_2) | instskip(SKIP_1) | instid1(VALU_DEP_1)
	v_fma_f64 v[160:161], v[124:125], v[104:105], -v[4:5]
	v_mul_f64 v[4:5], v[124:125], v[106:107]
	v_fma_f64 v[162:163], v[126:127], v[104:105], v[4:5]
	ds_load_b128 v[124:127], v201 offset:15840
	ds_load_b128 v[142:145], v201 offset:14080
	s_waitcnt vmcnt(0) lgkmcnt(1)
	v_mul_f64 v[4:5], v[124:125], v[118:119]
	s_delay_alu instid0(VALU_DEP_1) | instskip(SKIP_1) | instid1(VALU_DEP_1)
	v_fma_f64 v[156:157], v[126:127], v[116:117], v[4:5]
	v_mul_f64 v[4:5], v[126:127], v[118:119]
	v_fma_f64 v[158:159], v[124:125], v[116:117], -v[4:5]
	s_clause 0x1
	global_load_b128 v[128:131], v[140:141], off offset:1760
	global_load_b128 v[124:127], v[140:141], off offset:1776
	s_waitcnt vmcnt(1)
	v_mul_f64 v[4:5], v[134:135], v[130:131]
	s_delay_alu instid0(VALU_DEP_1) | instskip(SKIP_1) | instid1(VALU_DEP_1)
	v_fma_f64 v[168:169], v[132:133], v[128:129], -v[4:5]
	v_mul_f64 v[4:5], v[132:133], v[130:131]
	v_fma_f64 v[170:171], v[134:135], v[128:129], v[4:5]
	s_clause 0x1
	global_load_b128 v[136:139], v[140:141], off offset:1840
	global_load_b128 v[132:135], v[140:141], off offset:1824
	s_waitcnt vmcnt(1) lgkmcnt(0)
	v_mul_f64 v[4:5], v[142:143], v[138:139]
	s_delay_alu instid0(VALU_DEP_1) | instskip(SKIP_1) | instid1(VALU_DEP_2)
	v_fma_f64 v[164:165], v[144:145], v[136:137], v[4:5]
	v_mul_f64 v[4:5], v[144:145], v[138:139]
	v_add_f64 v[209:210], v[170:171], v[164:165]
	s_delay_alu instid0(VALU_DEP_2)
	v_fma_f64 v[166:167], v[142:143], v[136:137], -v[4:5]
	ds_load_b128 v[142:145], v201 offset:7040
	ds_load_b128 v[178:181], v201 offset:8800
	s_waitcnt lgkmcnt(1)
	v_mul_f64 v[4:5], v[144:145], v[126:127]
	v_add_f64 v[198:199], v[168:169], v[166:167]
	s_delay_alu instid0(VALU_DEP_2) | instskip(SKIP_1) | instid1(VALU_DEP_1)
	v_fma_f64 v[172:173], v[142:143], v[124:125], -v[4:5]
	v_mul_f64 v[4:5], v[142:143], v[126:127]
	v_fma_f64 v[174:175], v[144:145], v[124:125], v[4:5]
	s_clause 0x1
	global_load_b128 v[144:147], v[140:141], off offset:1792
	global_load_b128 v[140:143], v[140:141], off offset:1808
	ds_load_b128 v[182:185], v201 offset:10560
	ds_load_b128 v[186:189], v201 offset:12320
	s_waitcnt vmcnt(1) lgkmcnt(2)
	v_mul_f64 v[4:5], v[180:181], v[146:147]
	s_delay_alu instid0(VALU_DEP_1) | instskip(SKIP_1) | instid1(VALU_DEP_1)
	v_fma_f64 v[176:177], v[178:179], v[144:145], -v[4:5]
	v_mul_f64 v[4:5], v[178:179], v[146:147]
	v_fma_f64 v[178:179], v[180:181], v[144:145], v[4:5]
	s_waitcnt vmcnt(0) lgkmcnt(1)
	v_mul_f64 v[4:5], v[184:185], v[142:143]
	s_delay_alu instid0(VALU_DEP_1) | instskip(SKIP_1) | instid1(VALU_DEP_2)
	v_fma_f64 v[180:181], v[182:183], v[140:141], -v[4:5]
	v_mul_f64 v[4:5], v[182:183], v[142:143]
	v_add_f64 v[82:83], v[176:177], v[180:181]
	s_delay_alu instid0(VALU_DEP_2) | instskip(SKIP_2) | instid1(VALU_DEP_2)
	v_fma_f64 v[182:183], v[184:185], v[140:141], v[4:5]
	s_waitcnt lgkmcnt(0)
	v_mul_f64 v[4:5], v[188:189], v[134:135]
	v_add_f64 v[80:81], v[178:179], -v[182:183]
	s_delay_alu instid0(VALU_DEP_2) | instskip(SKIP_1) | instid1(VALU_DEP_3)
	v_fma_f64 v[184:185], v[186:187], v[132:133], -v[4:5]
	v_mul_f64 v[4:5], v[186:187], v[134:135]
	v_mul_f64 v[148:149], v[80:81], s[30:31]
	s_delay_alu instid0(VALU_DEP_3) | instskip(NEXT) | instid1(VALU_DEP_3)
	v_add_f64 v[251:252], v[172:173], v[184:185]
	v_fma_f64 v[186:187], v[188:189], v[132:133], v[4:5]
	v_add_f64 v[4:5], v[2:3], -v[152:153]
	v_add_f64 v[249:250], v[172:173], -v[184:185]
	v_mul_f64 v[88:89], v[80:81], s[22:23]
	v_fma_f64 v[150:151], v[82:83], s[26:27], -v[148:149]
	v_add_f64 v[247:248], v[174:175], -v[186:187]
	v_mul_f64 v[6:7], v[4:5], s[28:29]
	v_mul_f64 v[8:9], v[4:5], s[24:25]
	;; [unrolled: 1-line block ×5, first 2 shown]
	v_add_f64 v[253:254], v[174:175], v[186:187]
	v_mul_f64 v[245:246], v[249:250], s[36:37]
	v_mul_f64 v[60:61], v[249:250], s[28:29]
	;; [unrolled: 1-line block ×3, first 2 shown]
	v_fma_f64 v[90:91], v[82:83], s[16:17], -v[88:89]
	v_mul_f64 v[243:244], v[247:248], s[36:37]
	v_fma_f64 v[16:17], v[14:15], s[26:27], -v[6:7]
	v_fma_f64 v[6:7], v[14:15], s[26:27], v[6:7]
	v_fma_f64 v[18:19], v[14:15], s[14:15], -v[8:9]
	v_fma_f64 v[8:9], v[14:15], s[14:15], v[8:9]
	;; [unrolled: 2-line block ×5, first 2 shown]
	v_add_f64 v[14:15], v[0:1], -v[154:155]
	v_add_f64 v[0:1], v[215:216], v[0:1]
	v_fma_f64 v[62:63], v[253:254], s[26:27], v[60:61]
	v_fma_f64 v[70:71], v[253:254], s[10:11], v[68:69]
	v_mul_f64 v[84:85], v[247:248], s[34:35]
	v_add_f64 v[2:3], v[215:216], v[16:17]
	v_add_f64 v[192:193], v[215:216], v[6:7]
	;; [unrolled: 1-line block ×10, first 2 shown]
	v_mul_f64 v[26:27], v[14:15], s[28:29]
	v_mul_f64 v[28:29], v[14:15], s[24:25]
	;; [unrolled: 1-line block ×5, first 2 shown]
	scratch_store_b64 off, v[0:1], off offset:372 ; 8-byte Folded Spill
	v_fma_f64 v[86:87], v[251:252], s[14:15], -v[84:85]
	v_fma_f64 v[36:37], v[34:35], s[26:27], v[26:27]
	v_fma_f64 v[26:27], v[34:35], s[26:27], -v[26:27]
	v_fma_f64 v[38:39], v[34:35], s[14:15], v[28:29]
	v_fma_f64 v[72:73], v[34:35], s[16:17], v[30:31]
	v_fma_f64 v[28:29], v[34:35], s[14:15], -v[28:29]
	v_fma_f64 v[30:31], v[34:35], s[16:17], -v[30:31]
	v_fma_f64 v[74:75], v[34:35], s[12:13], v[32:33]
	v_fma_f64 v[76:77], v[34:35], s[10:11], v[14:15]
	v_fma_f64 v[32:33], v[34:35], s[12:13], -v[32:33]
	v_fma_f64 v[14:15], v[34:35], s[10:11], -v[14:15]
	v_add_f64 v[188:189], v[217:218], v[36:37]
	v_add_f64 v[36:37], v[162:163], -v[156:157]
	v_add_f64 v[194:195], v[217:218], v[26:27]
	v_add_f64 v[16:17], v[217:218], v[38:39]
	;; [unrolled: 1-line block ×11, first 2 shown]
	v_mul_f64 v[72:73], v[36:37], s[20:21]
	s_delay_alu instid0(VALU_DEP_1) | instskip(NEXT) | instid1(VALU_DEP_1)
	v_fma_f64 v[74:75], v[38:39], s[12:13], -v[72:73]
	v_add_f64 v[6:7], v[74:75], v[6:7]
	v_add_f64 v[74:75], v[160:161], -v[158:159]
	s_delay_alu instid0(VALU_DEP_1) | instskip(SKIP_3) | instid1(VALU_DEP_4)
	v_mul_f64 v[78:79], v[74:75], s[20:21]
	v_mul_f64 v[239:240], v[74:75], s[38:39]
	;; [unrolled: 1-line block ×4, first 2 shown]
	v_fma_f64 v[196:197], v[76:77], s[12:13], v[78:79]
	s_delay_alu instid0(VALU_DEP_1) | instskip(SKIP_1) | instid1(VALU_DEP_1)
	v_add_f64 v[16:17], v[196:197], v[16:17]
	v_add_f64 v[196:197], v[170:171], -v[164:165]
	v_mul_f64 v[202:203], v[196:197], s[38:39]
	v_mul_f64 v[241:242], v[196:197], s[34:35]
	;; [unrolled: 1-line block ×4, first 2 shown]
	s_delay_alu instid0(VALU_DEP_4) | instskip(NEXT) | instid1(VALU_DEP_1)
	v_fma_f64 v[206:207], v[198:199], s[10:11], -v[202:203]
	v_add_f64 v[6:7], v[206:207], v[6:7]
	v_add_f64 v[206:207], v[168:169], -v[166:167]
	s_delay_alu instid0(VALU_DEP_1) | instskip(SKIP_3) | instid1(VALU_DEP_4)
	v_mul_f64 v[211:212], v[206:207], s[38:39]
	v_mul_f64 v[56:57], v[206:207], s[34:35]
	;; [unrolled: 1-line block ×4, first 2 shown]
	v_fma_f64 v[215:216], v[209:210], s[10:11], v[211:212]
	s_delay_alu instid0(VALU_DEP_4) | instskip(NEXT) | instid1(VALU_DEP_4)
	v_fma_f64 v[58:59], v[209:210], s[14:15], v[56:57]
	v_fma_f64 v[66:67], v[209:210], s[26:27], v[64:65]
	s_delay_alu instid0(VALU_DEP_3) | instskip(SKIP_1) | instid1(VALU_DEP_1)
	v_add_f64 v[16:17], v[215:216], v[16:17]
	v_fma_f64 v[215:216], v[251:252], s[16:17], -v[243:244]
	v_add_f64 v[6:7], v[215:216], v[6:7]
	v_fma_f64 v[215:216], v[253:254], s[16:17], v[245:246]
	s_delay_alu instid0(VALU_DEP_1) | instskip(NEXT) | instid1(VALU_DEP_3)
	v_add_f64 v[16:17], v[215:216], v[16:17]
	v_add_f64 v[215:216], v[150:151], v[6:7]
	v_add_f64 v[6:7], v[176:177], -v[180:181]
	v_add_f64 v[150:151], v[178:179], v[182:183]
	s_delay_alu instid0(VALU_DEP_2) | instskip(NEXT) | instid1(VALU_DEP_1)
	v_mul_f64 v[204:205], v[6:7], s[30:31]
	v_fma_f64 v[217:218], v[150:151], s[26:27], v[204:205]
	s_delay_alu instid0(VALU_DEP_1) | instskip(SKIP_1) | instid1(VALU_DEP_1)
	v_add_f64 v[217:218], v[217:218], v[16:17]
	v_mul_f64 v[16:17], v[36:37], s[38:39]
	v_fma_f64 v[219:220], v[38:39], s[10:11], -v[16:17]
	s_delay_alu instid0(VALU_DEP_1) | instskip(SKIP_1) | instid1(VALU_DEP_1)
	v_add_f64 v[20:21], v[219:220], v[20:21]
	v_fma_f64 v[219:220], v[76:77], s[10:11], v[239:240]
	v_add_f64 v[26:27], v[219:220], v[26:27]
	v_fma_f64 v[219:220], v[198:199], s[14:15], -v[241:242]
	s_delay_alu instid0(VALU_DEP_2) | instskip(SKIP_1) | instid1(VALU_DEP_3)
	v_add_f64 v[26:27], v[58:59], v[26:27]
	v_mul_f64 v[58:59], v[247:248], s[28:29]
	v_add_f64 v[20:21], v[219:220], v[20:21]
	s_delay_alu instid0(VALU_DEP_3) | instskip(NEXT) | instid1(VALU_DEP_3)
	v_add_f64 v[26:27], v[62:63], v[26:27]
	v_fma_f64 v[219:220], v[251:252], s[26:27], -v[58:59]
	v_mul_f64 v[62:63], v[80:81], s[20:21]
	s_delay_alu instid0(VALU_DEP_2) | instskip(NEXT) | instid1(VALU_DEP_2)
	v_add_f64 v[20:21], v[219:220], v[20:21]
	v_fma_f64 v[219:220], v[82:83], s[12:13], -v[62:63]
	s_delay_alu instid0(VALU_DEP_1) | instskip(SKIP_1) | instid1(VALU_DEP_1)
	v_add_f64 v[219:220], v[219:220], v[20:21]
	v_mul_f64 v[20:21], v[6:7], s[20:21]
	v_fma_f64 v[221:222], v[150:151], s[12:13], v[20:21]
	s_delay_alu instid0(VALU_DEP_1) | instskip(SKIP_1) | instid1(VALU_DEP_1)
	v_add_f64 v[221:222], v[221:222], v[26:27]
	v_mul_f64 v[26:27], v[36:37], s[36:37]
	v_fma_f64 v[223:224], v[38:39], s[16:17], -v[26:27]
	s_delay_alu instid0(VALU_DEP_1) | instskip(SKIP_1) | instid1(VALU_DEP_1)
	v_add_f64 v[22:23], v[223:224], v[22:23]
	v_fma_f64 v[223:224], v[76:77], s[16:17], v[235:236]
	v_add_f64 v[30:31], v[223:224], v[30:31]
	v_fma_f64 v[223:224], v[198:199], s[26:27], -v[237:238]
	s_delay_alu instid0(VALU_DEP_2) | instskip(SKIP_1) | instid1(VALU_DEP_3)
	v_add_f64 v[30:31], v[66:67], v[30:31]
	v_mul_f64 v[66:67], v[247:248], s[18:19]
	v_add_f64 v[22:23], v[223:224], v[22:23]
	s_delay_alu instid0(VALU_DEP_3) | instskip(NEXT) | instid1(VALU_DEP_3)
	v_add_f64 v[30:31], v[70:71], v[30:31]
	v_fma_f64 v[223:224], v[251:252], s[10:11], -v[66:67]
	v_mul_f64 v[70:71], v[80:81], s[34:35]
	s_delay_alu instid0(VALU_DEP_2) | instskip(NEXT) | instid1(VALU_DEP_2)
	v_add_f64 v[22:23], v[223:224], v[22:23]
	v_fma_f64 v[223:224], v[82:83], s[14:15], -v[70:71]
	s_delay_alu instid0(VALU_DEP_1) | instskip(SKIP_1) | instid1(VALU_DEP_1)
	v_add_f64 v[223:224], v[223:224], v[22:23]
	v_mul_f64 v[22:23], v[6:7], s[34:35]
	v_fma_f64 v[225:226], v[150:151], s[14:15], v[22:23]
	s_delay_alu instid0(VALU_DEP_1) | instskip(SKIP_1) | instid1(VALU_DEP_1)
	v_add_f64 v[225:226], v[225:226], v[30:31]
	v_mul_f64 v[30:31], v[36:37], s[30:31]
	v_fma_f64 v[227:228], v[38:39], s[26:27], -v[30:31]
	v_fma_f64 v[30:31], v[38:39], s[26:27], v[30:31]
	s_delay_alu instid0(VALU_DEP_2) | instskip(SKIP_1) | instid1(VALU_DEP_3)
	v_add_f64 v[24:25], v[227:228], v[24:25]
	v_fma_f64 v[227:228], v[76:77], s[26:27], v[231:232]
	v_add_f64 v[4:5], v[30:31], v[4:5]
	v_fma_f64 v[30:31], v[76:77], s[26:27], -v[231:232]
	s_delay_alu instid0(VALU_DEP_3) | instskip(SKIP_1) | instid1(VALU_DEP_3)
	v_add_f64 v[34:35], v[227:228], v[34:35]
	v_fma_f64 v[227:228], v[198:199], s[12:13], -v[233:234]
	v_add_f64 v[14:15], v[30:31], v[14:15]
	v_fma_f64 v[30:31], v[198:199], s[12:13], v[233:234]
	s_delay_alu instid0(VALU_DEP_3) | instskip(SKIP_2) | instid1(VALU_DEP_4)
	v_add_f64 v[24:25], v[227:228], v[24:25]
	v_fma_f64 v[227:228], v[209:210], s[12:13], v[0:1]
	v_fma_f64 v[0:1], v[209:210], s[12:13], -v[0:1]
	v_add_f64 v[4:5], v[30:31], v[4:5]
	s_delay_alu instid0(VALU_DEP_4) | instskip(SKIP_4) | instid1(VALU_DEP_4)
	v_add_f64 v[24:25], v[86:87], v[24:25]
	v_mul_f64 v[86:87], v[249:250], s[34:35]
	v_add_f64 v[34:35], v[227:228], v[34:35]
	v_add_f64 v[0:1], v[0:1], v[14:15]
	v_fma_f64 v[14:15], v[251:252], s[14:15], v[84:85]
	v_fma_f64 v[227:228], v[253:254], s[14:15], v[86:87]
	s_delay_alu instid0(VALU_DEP_2) | instskip(SKIP_1) | instid1(VALU_DEP_3)
	v_add_f64 v[4:5], v[14:15], v[4:5]
	v_fma_f64 v[14:15], v[253:254], s[14:15], -v[86:87]
	v_add_f64 v[34:35], v[227:228], v[34:35]
	v_add_f64 v[227:228], v[90:91], v[24:25]
	v_mul_f64 v[24:25], v[6:7], s[22:23]
	v_mul_f64 v[6:7], v[6:7], s[18:19]
	v_add_f64 v[0:1], v[14:15], v[0:1]
	v_fma_f64 v[14:15], v[82:83], s[16:17], v[88:89]
	s_delay_alu instid0(VALU_DEP_4) | instskip(SKIP_1) | instid1(VALU_DEP_3)
	v_fma_f64 v[90:91], v[150:151], s[16:17], v[24:25]
	v_fma_f64 v[24:25], v[150:151], s[16:17], -v[24:25]
	v_add_f64 v[231:232], v[14:15], v[4:5]
	v_fma_f64 v[4:5], v[76:77], s[16:17], -v[235:236]
	v_fma_f64 v[14:15], v[150:151], s[14:15], -v[22:23]
	v_add_f64 v[229:230], v[90:91], v[34:35]
	v_add_f64 v[233:234], v[24:25], v[0:1]
	v_fma_f64 v[0:1], v[38:39], s[16:17], v[26:27]
	v_add_f64 v[4:5], v[4:5], v[32:33]
	s_delay_alu instid0(VALU_DEP_2) | instskip(SKIP_1) | instid1(VALU_DEP_1)
	v_add_f64 v[0:1], v[0:1], v[12:13]
	v_fma_f64 v[12:13], v[198:199], s[26:27], v[237:238]
	v_add_f64 v[0:1], v[12:13], v[0:1]
	v_fma_f64 v[12:13], v[209:210], s[26:27], -v[64:65]
	s_delay_alu instid0(VALU_DEP_1) | instskip(SKIP_1) | instid1(VALU_DEP_1)
	v_add_f64 v[4:5], v[12:13], v[4:5]
	v_fma_f64 v[12:13], v[251:252], s[10:11], v[66:67]
	v_add_f64 v[0:1], v[12:13], v[0:1]
	v_fma_f64 v[12:13], v[253:254], s[10:11], -v[68:69]
	s_delay_alu instid0(VALU_DEP_1) | instskip(SKIP_1) | instid1(VALU_DEP_2)
	v_add_f64 v[4:5], v[12:13], v[4:5]
	v_fma_f64 v[12:13], v[82:83], s[14:15], v[70:71]
	v_add_f64 v[237:238], v[14:15], v[4:5]
	s_delay_alu instid0(VALU_DEP_2) | instskip(SKIP_3) | instid1(VALU_DEP_3)
	v_add_f64 v[235:236], v[12:13], v[0:1]
	v_fma_f64 v[0:1], v[38:39], s[10:11], v[16:17]
	v_fma_f64 v[4:5], v[76:77], s[10:11], -v[239:240]
	v_fma_f64 v[12:13], v[150:151], s[12:13], -v[20:21]
	v_add_f64 v[0:1], v[0:1], v[10:11]
	v_fma_f64 v[10:11], v[198:199], s[14:15], v[241:242]
	s_delay_alu instid0(VALU_DEP_4) | instskip(NEXT) | instid1(VALU_DEP_2)
	v_add_f64 v[4:5], v[4:5], v[28:29]
	v_add_f64 v[0:1], v[10:11], v[0:1]
	v_fma_f64 v[10:11], v[209:210], s[14:15], -v[56:57]
	s_delay_alu instid0(VALU_DEP_1) | instskip(SKIP_1) | instid1(VALU_DEP_1)
	v_add_f64 v[4:5], v[10:11], v[4:5]
	v_fma_f64 v[10:11], v[251:252], s[26:27], v[58:59]
	v_add_f64 v[0:1], v[10:11], v[0:1]
	v_fma_f64 v[10:11], v[253:254], s[26:27], -v[60:61]
	s_delay_alu instid0(VALU_DEP_1) | instskip(SKIP_1) | instid1(VALU_DEP_2)
	v_add_f64 v[4:5], v[10:11], v[4:5]
	v_fma_f64 v[10:11], v[82:83], s[12:13], v[62:63]
	v_add_f64 v[241:242], v[12:13], v[4:5]
	s_delay_alu instid0(VALU_DEP_2) | instskip(SKIP_3) | instid1(VALU_DEP_3)
	v_add_f64 v[239:240], v[10:11], v[0:1]
	v_fma_f64 v[0:1], v[38:39], s[12:13], v[72:73]
	v_fma_f64 v[4:5], v[76:77], s[12:13], -v[78:79]
	v_fma_f64 v[10:11], v[150:151], s[26:27], -v[204:205]
	v_add_f64 v[0:1], v[0:1], v[8:9]
	v_fma_f64 v[8:9], v[198:199], s[10:11], v[202:203]
	s_delay_alu instid0(VALU_DEP_4) | instskip(NEXT) | instid1(VALU_DEP_2)
	v_add_f64 v[4:5], v[4:5], v[18:19]
	v_add_f64 v[0:1], v[8:9], v[0:1]
	v_fma_f64 v[8:9], v[209:210], s[10:11], -v[211:212]
	s_delay_alu instid0(VALU_DEP_1) | instskip(SKIP_1) | instid1(VALU_DEP_1)
	v_add_f64 v[4:5], v[8:9], v[4:5]
	v_fma_f64 v[8:9], v[251:252], s[16:17], v[243:244]
	v_add_f64 v[0:1], v[8:9], v[0:1]
	v_fma_f64 v[8:9], v[253:254], s[16:17], -v[245:246]
	s_delay_alu instid0(VALU_DEP_1) | instskip(SKIP_1) | instid1(VALU_DEP_2)
	v_add_f64 v[4:5], v[8:9], v[4:5]
	v_fma_f64 v[8:9], v[82:83], s[26:27], v[148:149]
	v_add_f64 v[245:246], v[10:11], v[4:5]
	s_delay_alu instid0(VALU_DEP_2) | instskip(SKIP_2) | instid1(VALU_DEP_2)
	v_add_f64 v[243:244], v[8:9], v[0:1]
	v_mul_f64 v[0:1], v[36:37], s[24:25]
	v_mul_f64 v[10:11], v[196:197], s[22:23]
	v_fma_f64 v[4:5], v[38:39], s[14:15], -v[0:1]
	s_delay_alu instid0(VALU_DEP_2) | instskip(SKIP_1) | instid1(VALU_DEP_3)
	v_fma_f64 v[12:13], v[198:199], s[16:17], -v[10:11]
	v_fma_f64 v[0:1], v[38:39], s[14:15], v[0:1]
	v_add_f64 v[2:3], v[4:5], v[2:3]
	v_mul_f64 v[4:5], v[74:75], s[24:25]
	s_delay_alu instid0(VALU_DEP_3) | instskip(NEXT) | instid1(VALU_DEP_3)
	v_add_f64 v[0:1], v[0:1], v[192:193]
	v_add_f64 v[2:3], v[12:13], v[2:3]
	s_delay_alu instid0(VALU_DEP_3) | instskip(SKIP_1) | instid1(VALU_DEP_2)
	v_fma_f64 v[8:9], v[76:77], s[14:15], v[4:5]
	v_mul_f64 v[12:13], v[206:207], s[22:23]
	v_add_f64 v[8:9], v[8:9], v[188:189]
	s_delay_alu instid0(VALU_DEP_2) | instskip(NEXT) | instid1(VALU_DEP_1)
	v_fma_f64 v[14:15], v[209:210], s[16:17], v[12:13]
	v_add_f64 v[8:9], v[14:15], v[8:9]
	v_mul_f64 v[14:15], v[247:248], s[20:21]
	s_delay_alu instid0(VALU_DEP_1) | instskip(NEXT) | instid1(VALU_DEP_1)
	v_fma_f64 v[16:17], v[251:252], s[12:13], -v[14:15]
	v_add_f64 v[2:3], v[16:17], v[2:3]
	v_mul_f64 v[16:17], v[249:250], s[20:21]
	s_delay_alu instid0(VALU_DEP_1) | instskip(NEXT) | instid1(VALU_DEP_1)
	v_fma_f64 v[18:19], v[253:254], s[12:13], v[16:17]
	v_add_f64 v[8:9], v[18:19], v[8:9]
	v_mul_f64 v[18:19], v[80:81], s[18:19]
	s_delay_alu instid0(VALU_DEP_1) | instskip(NEXT) | instid1(VALU_DEP_1)
	v_fma_f64 v[20:21], v[82:83], s[10:11], -v[18:19]
	v_add_f64 v[247:248], v[20:21], v[2:3]
	v_fma_f64 v[2:3], v[150:151], s[10:11], v[6:7]
	v_fma_f64 v[6:7], v[150:151], s[10:11], -v[6:7]
	s_delay_alu instid0(VALU_DEP_2) | instskip(SKIP_2) | instid1(VALU_DEP_1)
	v_add_f64 v[249:250], v[2:3], v[8:9]
	scratch_load_b64 v[2:3], off, off offset:372 ; 8-byte Folded Reload
	v_add_f64 v[8:9], v[190:191], v[162:163]
	v_add_f64 v[8:9], v[8:9], v[170:171]
	s_delay_alu instid0(VALU_DEP_1) | instskip(NEXT) | instid1(VALU_DEP_1)
	v_add_f64 v[8:9], v[8:9], v[174:175]
	v_add_f64 v[8:9], v[8:9], v[178:179]
	s_delay_alu instid0(VALU_DEP_1) | instskip(NEXT) | instid1(VALU_DEP_1)
	;; [unrolled: 3-line block ×3, first 2 shown]
	v_add_f64 v[8:9], v[8:9], v[164:165]
	v_add_f64 v[8:9], v[8:9], v[156:157]
	s_delay_alu instid0(VALU_DEP_1) | instskip(SKIP_4) | instid1(VALU_DEP_1)
	v_add_f64 v[162:163], v[8:9], v[152:153]
	v_fma_f64 v[8:9], v[209:210], s[16:17], -v[12:13]
	v_fma_f64 v[12:13], v[253:254], s[12:13], -v[16:17]
	s_waitcnt vmcnt(0)
	v_add_f64 v[2:3], v[2:3], v[160:161]
	v_add_f64 v[2:3], v[2:3], v[168:169]
	s_delay_alu instid0(VALU_DEP_1) | instskip(NEXT) | instid1(VALU_DEP_1)
	v_add_f64 v[2:3], v[2:3], v[172:173]
	v_add_f64 v[2:3], v[2:3], v[176:177]
	s_delay_alu instid0(VALU_DEP_1) | instskip(NEXT) | instid1(VALU_DEP_1)
	;; [unrolled: 3-line block ×3, first 2 shown]
	v_add_f64 v[2:3], v[2:3], v[166:167]
	v_add_f64 v[2:3], v[2:3], v[158:159]
	s_delay_alu instid0(VALU_DEP_1)
	v_add_f64 v[160:161], v[2:3], v[154:155]
	v_fma_f64 v[2:3], v[76:77], s[14:15], -v[4:5]
	v_fma_f64 v[4:5], v[198:199], s[16:17], v[10:11]
	v_fma_f64 v[10:11], v[251:252], s[12:13], v[14:15]
	ds_store_b128 v201, v[215:218] offset:3520
	ds_store_b128 v201, v[219:222] offset:5280
	;; [unrolled: 1-line block ×9, first 2 shown]
	ds_store_b128 v201, v[160:163]
	v_add_f64 v[2:3], v[2:3], v[194:195]
	v_add_f64 v[0:1], v[4:5], v[0:1]
	v_fma_f64 v[4:5], v[82:83], s[10:11], v[18:19]
	s_delay_alu instid0(VALU_DEP_3) | instskip(NEXT) | instid1(VALU_DEP_3)
	v_add_f64 v[2:3], v[8:9], v[2:3]
	v_add_f64 v[0:1], v[10:11], v[0:1]
	s_delay_alu instid0(VALU_DEP_2) | instskip(NEXT) | instid1(VALU_DEP_2)
	v_add_f64 v[2:3], v[12:13], v[2:3]
	v_add_f64 v[156:157], v[4:5], v[0:1]
	v_add_co_u32 v0, s1, 0x8000, v200
	s_delay_alu instid0(VALU_DEP_1) | instskip(NEXT) | instid1(VALU_DEP_4)
	v_add_co_ci_u32_e64 v1, s1, 0, v208, s1
	v_add_f64 v[158:159], v[6:7], v[2:3]
	ds_store_b128 v201, v[156:159] offset:17600
	s_waitcnt lgkmcnt(0)
	s_waitcnt_vscnt null, 0x0
	s_barrier
	buffer_gl0_inv
	scratch_load_b64 v[206:207], off, off offset:128 ; 8-byte Folded Reload
	s_waitcnt vmcnt(0)
	global_load_b128 v[152:155], v[206:207], off offset:2976
	ds_load_b128 v[160:163], v201
	ds_load_b128 v[164:167], v201 offset:1760
	global_load_b128 v[168:171], v[0:1], off offset:3312
	ds_load_b128 v[172:175], v201 offset:9680
	ds_load_b128 v[180:183], v201 offset:7040
	s_waitcnt vmcnt(1) lgkmcnt(3)
	v_mul_f64 v[2:3], v[162:163], v[154:155]
	v_mul_f64 v[4:5], v[160:161], v[154:155]
	s_delay_alu instid0(VALU_DEP_2) | instskip(SKIP_1) | instid1(VALU_DEP_1)
	v_fma_f64 v[160:161], v[160:161], v[152:153], -v[2:3]
	v_add_co_u32 v2, s1, 0x7000, v200
	v_add_co_ci_u32_e64 v3, s1, 0, v208, s1
	s_delay_alu instid0(VALU_DEP_4)
	v_fma_f64 v[162:163], v[162:163], v[152:153], v[4:5]
	s_clause 0x1
	global_load_b128 v[152:155], v[2:3], off offset:368
	global_load_b128 v[176:179], v[2:3], off offset:2128
	s_waitcnt vmcnt(1) lgkmcnt(1)
	v_mul_f64 v[4:5], v[174:175], v[154:155]
	v_mul_f64 v[6:7], v[172:173], v[154:155]
	s_delay_alu instid0(VALU_DEP_2) | instskip(NEXT) | instid1(VALU_DEP_2)
	v_fma_f64 v[172:173], v[172:173], v[152:153], -v[4:5]
	v_fma_f64 v[174:175], v[174:175], v[152:153], v[6:7]
	v_add_co_u32 v152, s1, 0x4ba0, v200
	s_delay_alu instid0(VALU_DEP_1)
	v_add_co_ci_u32_e64 v153, s1, 0, v208, s1
	s_clause 0x1
	global_load_b128 v[184:187], v[152:153], off offset:1760
	global_load_b128 v[188:191], v[152:153], off offset:3520
	s_waitcnt vmcnt(1)
	v_mul_f64 v[4:5], v[166:167], v[186:187]
	v_mul_f64 v[6:7], v[164:165], v[186:187]
	s_delay_alu instid0(VALU_DEP_2) | instskip(NEXT) | instid1(VALU_DEP_2)
	v_fma_f64 v[164:165], v[164:165], v[184:185], -v[4:5]
	v_fma_f64 v[166:167], v[166:167], v[184:185], v[6:7]
	ds_load_b128 v[184:187], v201 offset:11440
	ds_load_b128 v[192:195], v201 offset:13200
	s_waitcnt lgkmcnt(1)
	v_mul_f64 v[4:5], v[186:187], v[178:179]
	v_mul_f64 v[6:7], v[184:185], v[178:179]
	s_delay_alu instid0(VALU_DEP_2) | instskip(NEXT) | instid1(VALU_DEP_2)
	v_fma_f64 v[184:185], v[184:185], v[176:177], -v[4:5]
	v_fma_f64 v[186:187], v[186:187], v[176:177], v[6:7]
	ds_load_b128 v[176:179], v201 offset:3520
	ds_load_b128 v[215:218], v201 offset:5280
	s_waitcnt vmcnt(0) lgkmcnt(1)
	v_mul_f64 v[4:5], v[178:179], v[190:191]
	v_mul_f64 v[6:7], v[176:177], v[190:191]
	s_delay_alu instid0(VALU_DEP_2) | instskip(SKIP_1) | instid1(VALU_DEP_1)
	v_fma_f64 v[176:177], v[176:177], v[188:189], -v[4:5]
	v_add_co_u32 v4, s1, 0x6000, v200
	v_add_co_ci_u32_e64 v5, s1, 0, v208, s1
	s_delay_alu instid0(VALU_DEP_4)
	v_fma_f64 v[178:179], v[178:179], v[188:189], v[6:7]
	s_clause 0x1
	global_load_b128 v[188:191], v[2:3], off offset:3888
	global_load_b128 v[219:222], v[4:5], off offset:64
	s_waitcnt vmcnt(1)
	v_mul_f64 v[2:3], v[194:195], v[190:191]
	v_mul_f64 v[6:7], v[192:193], v[190:191]
	s_delay_alu instid0(VALU_DEP_2) | instskip(NEXT) | instid1(VALU_DEP_2)
	v_fma_f64 v[190:191], v[192:193], v[188:189], -v[2:3]
	v_fma_f64 v[192:193], v[194:195], v[188:189], v[6:7]
	s_waitcnt vmcnt(0) lgkmcnt(0)
	v_mul_f64 v[2:3], v[217:218], v[221:222]
	v_mul_f64 v[6:7], v[215:216], v[221:222]
	s_delay_alu instid0(VALU_DEP_2) | instskip(NEXT) | instid1(VALU_DEP_2)
	v_fma_f64 v[215:216], v[215:216], v[219:220], -v[2:3]
	v_fma_f64 v[217:218], v[217:218], v[219:220], v[6:7]
	s_clause 0x1
	global_load_b128 v[219:222], v[0:1], off offset:1552
	global_load_b128 v[223:226], v[4:5], off offset:1824
	ds_load_b128 v[227:230], v201 offset:14960
	ds_load_b128 v[231:234], v201 offset:16720
	s_waitcnt vmcnt(1) lgkmcnt(1)
	v_mul_f64 v[0:1], v[229:230], v[221:222]
	v_mul_f64 v[2:3], v[227:228], v[221:222]
	s_delay_alu instid0(VALU_DEP_2) | instskip(NEXT) | instid1(VALU_DEP_2)
	v_fma_f64 v[227:228], v[227:228], v[219:220], -v[0:1]
	v_fma_f64 v[229:230], v[229:230], v[219:220], v[2:3]
	s_waitcnt vmcnt(0)
	v_mul_f64 v[0:1], v[182:183], v[225:226]
	v_mul_f64 v[2:3], v[180:181], v[225:226]
	s_delay_alu instid0(VALU_DEP_2) | instskip(NEXT) | instid1(VALU_DEP_2)
	v_fma_f64 v[180:181], v[180:181], v[223:224], -v[0:1]
	v_fma_f64 v[182:183], v[182:183], v[223:224], v[2:3]
	s_waitcnt lgkmcnt(0)
	v_mul_f64 v[0:1], v[233:234], v[170:171]
	v_mul_f64 v[2:3], v[231:232], v[170:171]
	s_delay_alu instid0(VALU_DEP_2) | instskip(NEXT) | instid1(VALU_DEP_2)
	v_fma_f64 v[219:220], v[231:232], v[168:169], -v[0:1]
	v_fma_f64 v[221:222], v[233:234], v[168:169], v[2:3]
	ds_store_b128 v201, v[160:163]
	ds_store_b128 v201, v[164:167] offset:1760
	ds_store_b128 v201, v[184:187] offset:11440
	;; [unrolled: 1-line block ×9, first 2 shown]
	s_and_saveexec_b32 s2, vcc_lo
	s_cbranch_execz .LBB0_13
; %bb.12:
	v_add_co_u32 v0, s1, 0x2000, v152
	s_delay_alu instid0(VALU_DEP_1) | instskip(SKIP_1) | instid1(VALU_DEP_1)
	v_add_co_ci_u32_e64 v1, s1, 0, v153, s1
	v_add_co_u32 v2, s1, 0x4000, v152
	v_add_co_ci_u32_e64 v3, s1, 0, v153, s1
	s_clause 0x1
	global_load_b128 v[152:155], v[0:1], off offset:608
	global_load_b128 v[160:163], v[2:3], off offset:2096
	ds_load_b128 v[164:167], v201 offset:8800
	ds_load_b128 v[168:171], v201 offset:18480
	s_waitcnt vmcnt(1) lgkmcnt(1)
	v_mul_f64 v[0:1], v[166:167], v[154:155]
	v_mul_f64 v[2:3], v[164:165], v[154:155]
	s_waitcnt vmcnt(0) lgkmcnt(0)
	v_mul_f64 v[4:5], v[170:171], v[162:163]
	v_mul_f64 v[6:7], v[168:169], v[162:163]
	s_delay_alu instid0(VALU_DEP_4) | instskip(NEXT) | instid1(VALU_DEP_4)
	v_fma_f64 v[162:163], v[164:165], v[152:153], -v[0:1]
	v_fma_f64 v[164:165], v[166:167], v[152:153], v[2:3]
	s_delay_alu instid0(VALU_DEP_4) | instskip(NEXT) | instid1(VALU_DEP_4)
	v_fma_f64 v[152:153], v[168:169], v[160:161], -v[4:5]
	v_fma_f64 v[154:155], v[170:171], v[160:161], v[6:7]
	ds_store_b128 v201, v[162:165] offset:8800
	ds_store_b128 v201, v[152:155] offset:18480
.LBB0_13:
	s_or_b32 exec_lo, exec_lo, s2
	s_waitcnt lgkmcnt(0)
	s_barrier
	buffer_gl0_inv
	ds_load_b128 v[160:163], v201
	ds_load_b128 v[164:167], v201 offset:1760
	ds_load_b128 v[188:191], v201 offset:11440
	;; [unrolled: 1-line block ×9, first 2 shown]
	scratch_load_b32 v0, off, off offset:336 ; 4-byte Folded Reload
	s_waitcnt vmcnt(0)
	v_add_nc_u32_e32 v205, 0x2940, v0
	v_add_nc_u32_e32 v204, 0x3700, v0
	s_and_saveexec_b32 s1, vcc_lo
	s_cbranch_execz .LBB0_15
; %bb.14:
	ds_load_b128 v[156:159], v201 offset:8800
	ds_load_b128 v[0:3], v201 offset:18480
	s_waitcnt lgkmcnt(0)
	scratch_store_b128 off, v[0:3], off     ; 16-byte Folded Spill
.LBB0_15:
	s_or_b32 exec_lo, exec_lo, s1
	scratch_load_b128 v[0:3], off, off      ; 16-byte Folded Reload
	s_waitcnt lgkmcnt(0)
	v_add_f64 v[215:216], v[176:177], -v[152:153]
	s_waitcnt vmcnt(0)
	s_waitcnt_vscnt null, 0x0
	s_barrier
	buffer_gl0_inv
	v_add_f64 v[192:193], v[160:161], -v[192:193]
	v_add_f64 v[194:195], v[162:163], -v[194:195]
	;; [unrolled: 1-line block ×9, first 2 shown]
	v_fma_f64 v[176:177], v[176:177], 2.0, -v[215:216]
	v_fma_f64 v[160:161], v[160:161], 2.0, -v[192:193]
	;; [unrolled: 1-line block ×10, first 2 shown]
	v_add_f64 v[152:153], v[156:157], -v[0:1]
	scratch_load_b32 v0, off, off offset:324 ; 4-byte Folded Reload
	v_add_f64 v[154:155], v[158:159], -v[2:3]
	s_waitcnt vmcnt(0)
	ds_store_b128 v0, v[160:163]
	ds_store_b128 v0, v[192:195] offset:16
	scratch_load_b32 v0, off, off offset:328 ; 4-byte Folded Reload
	v_fma_f64 v[148:149], v[156:157], 2.0, -v[152:153]
	v_fma_f64 v[150:151], v[158:159], 2.0, -v[154:155]
	s_waitcnt vmcnt(0)
	ds_store_b128 v0, v[164:167]
	ds_store_b128 v0, v[188:191] offset:16
	scratch_load_b32 v0, off, off offset:332 ; 4-byte Folded Reload
	s_waitcnt vmcnt(0)
	ds_store_b128 v0, v[172:175]
	ds_store_b128 v0, v[184:187] offset:16
	ds_store_b128 v205, v[168:171]
	ds_store_b128 v205, v[180:183] offset:16
	;; [unrolled: 2-line block ×3, first 2 shown]
	s_and_saveexec_b32 s1, vcc_lo
	s_cbranch_execz .LBB0_17
; %bb.16:
	scratch_load_b32 v0, off, off offset:316 ; 4-byte Folded Reload
	s_waitcnt vmcnt(0)
	ds_store_b128 v0, v[148:151]
	ds_store_b128 v0, v[152:155] offset:16
.LBB0_17:
	s_or_b32 exec_lo, exec_lo, s1
	s_waitcnt lgkmcnt(0)
	s_barrier
	buffer_gl0_inv
	ds_load_b128 v[160:163], v201
	ds_load_b128 v[156:159], v201 offset:1760
	ds_load_b128 v[192:195], v201 offset:3872
	;; [unrolled: 1-line block ×9, first 2 shown]
	s_and_saveexec_b32 s1, s0
	s_cbranch_execz .LBB0_19
; %bb.18:
	ds_load_b128 v[148:151], v201 offset:3520
	ds_load_b128 v[152:155], v201 offset:7392
	;; [unrolled: 1-line block ×3, first 2 shown]
	s_waitcnt lgkmcnt(0)
	scratch_store_b128 off, v[0:3], off offset:16 ; 16-byte Folded Spill
	ds_load_b128 v[0:3], v201 offset:15136
	s_waitcnt lgkmcnt(0)
	scratch_store_b128 off, v[0:3], off offset:32 ; 16-byte Folded Spill
	ds_load_b128 v[0:3], v201 offset:19008
	s_waitcnt lgkmcnt(0)
	scratch_store_b128 off, v[0:3], off offset:48 ; 16-byte Folded Spill
.LBB0_19:
	s_or_b32 exec_lo, exec_lo, s1
	s_waitcnt lgkmcnt(7)
	v_mul_f64 v[0:1], v[42:43], v[194:195]
	s_waitcnt lgkmcnt(5)
	v_mul_f64 v[4:5], v[54:55], v[190:191]
	;; [unrolled: 2-line block ×4, first 2 shown]
	v_mul_f64 v[2:3], v[42:43], v[192:193]
	v_mul_f64 v[6:7], v[54:55], v[188:189]
	;; [unrolled: 1-line block ×4, first 2 shown]
	s_mov_b32 s14, 0x134454ff
	s_mov_b32 s15, 0xbfee6f0e
	;; [unrolled: 1-line block ×8, first 2 shown]
	v_mul_f64 v[24:25], v[50:51], v[170:171]
	v_mul_f64 v[26:27], v[50:51], v[168:169]
	s_mov_b32 s12, 0x372fe950
	s_mov_b32 s13, 0x3fd3c6ef
	s_waitcnt lgkmcnt(0)
	v_mul_f64 v[28:29], v[46:47], v[166:167]
	v_mul_f64 v[30:31], v[46:47], v[164:165]
	v_mul_f64 v[16:17], v[42:43], v[178:179]
	v_mul_f64 v[20:21], v[54:55], v[174:175]
	v_mul_f64 v[18:19], v[42:43], v[176:177]
	v_mul_f64 v[22:23], v[54:55], v[172:173]
	s_waitcnt_vscnt null, 0x0
	s_barrier
	buffer_gl0_inv
	v_fma_f64 v[0:1], v[40:41], v[192:193], v[0:1]
	v_fma_f64 v[4:5], v[52:53], v[188:189], v[4:5]
	;; [unrolled: 1-line block ×4, first 2 shown]
	v_fma_f64 v[2:3], v[40:41], v[194:195], -v[2:3]
	v_fma_f64 v[6:7], v[52:53], v[190:191], -v[6:7]
	;; [unrolled: 1-line block ×4, first 2 shown]
	v_fma_f64 v[24:25], v[48:49], v[168:169], v[24:25]
	v_fma_f64 v[26:27], v[48:49], v[170:171], -v[26:27]
	v_fma_f64 v[28:29], v[44:45], v[164:165], v[28:29]
	v_fma_f64 v[30:31], v[44:45], v[166:167], -v[30:31]
	v_fma_f64 v[16:17], v[40:41], v[176:177], v[16:17]
	v_fma_f64 v[20:21], v[52:53], v[172:173], v[20:21]
	v_fma_f64 v[18:19], v[40:41], v[178:179], -v[18:19]
	v_fma_f64 v[22:23], v[52:53], v[174:175], -v[22:23]
	v_add_f64 v[32:33], v[4:5], -v[0:1]
	v_add_f64 v[62:63], v[4:5], -v[8:9]
	;; [unrolled: 1-line block ×6, first 2 shown]
	v_add_f64 v[38:39], v[2:3], v[14:15]
	v_add_f64 v[58:59], v[2:3], -v[14:15]
	v_add_f64 v[32:33], v[32:33], v[34:35]
	v_add_f64 v[34:35], v[6:7], -v[2:3]
	s_delay_alu instid0(VALU_DEP_4) | instskip(NEXT) | instid1(VALU_DEP_2)
	v_fma_f64 v[38:39], v[38:39], -0.5, v[162:163]
	v_add_f64 v[34:35], v[34:35], v[36:37]
	v_add_f64 v[36:37], v[0:1], v[12:13]
	s_delay_alu instid0(VALU_DEP_3) | instskip(SKIP_1) | instid1(VALU_DEP_3)
	v_fma_f64 v[66:67], v[62:63], s[14:15], v[38:39]
	v_fma_f64 v[38:39], v[62:63], s[16:17], v[38:39]
	v_fma_f64 v[36:37], v[36:37], -0.5, v[160:161]
	s_delay_alu instid0(VALU_DEP_3) | instskip(NEXT) | instid1(VALU_DEP_3)
	v_fma_f64 v[66:67], v[64:65], s[2:3], v[66:67]
	v_fma_f64 v[38:39], v[64:65], s[10:11], v[38:39]
	s_delay_alu instid0(VALU_DEP_3) | instskip(SKIP_1) | instid1(VALU_DEP_4)
	v_fma_f64 v[60:61], v[56:57], s[16:17], v[36:37]
	v_fma_f64 v[36:37], v[56:57], s[14:15], v[36:37]
	;; [unrolled: 1-line block ×3, first 2 shown]
	s_delay_alu instid0(VALU_DEP_4)
	v_fma_f64 v[170:171], v[34:35], s[12:13], v[38:39]
	v_add_f64 v[38:39], v[162:163], v[2:3]
	v_add_f64 v[34:35], v[6:7], v[10:11]
	v_add_f64 v[2:3], v[2:3], -v[6:7]
	v_fma_f64 v[60:61], v[58:59], s[10:11], v[60:61]
	v_fma_f64 v[36:37], v[58:59], s[2:3], v[36:37]
	s_delay_alu instid0(VALU_DEP_4) | instskip(NEXT) | instid1(VALU_DEP_3)
	v_fma_f64 v[34:35], v[34:35], -0.5, v[162:163]
	v_fma_f64 v[164:165], v[32:33], s[12:13], v[60:61]
	s_delay_alu instid0(VALU_DEP_3) | instskip(SKIP_3) | instid1(VALU_DEP_3)
	v_fma_f64 v[168:169], v[32:33], s[12:13], v[36:37]
	v_add_f64 v[36:37], v[160:161], v[0:1]
	v_add_f64 v[32:33], v[4:5], v[8:9]
	v_add_f64 v[0:1], v[0:1], -v[4:5]
	v_add_f64 v[4:5], v[36:37], v[4:5]
	v_add_f64 v[36:37], v[38:39], v[6:7]
	s_delay_alu instid0(VALU_DEP_4) | instskip(NEXT) | instid1(VALU_DEP_3)
	v_fma_f64 v[32:33], v[32:33], -0.5, v[160:161]
	v_add_f64 v[4:5], v[4:5], v[8:9]
	s_delay_alu instid0(VALU_DEP_3) | instskip(SKIP_1) | instid1(VALU_DEP_3)
	v_add_f64 v[6:7], v[36:37], v[10:11]
	v_add_f64 v[8:9], v[12:13], -v[8:9]
	v_add_f64 v[160:161], v[4:5], v[12:13]
	s_delay_alu instid0(VALU_DEP_3)
	v_add_f64 v[162:163], v[6:7], v[14:15]
	v_add_f64 v[4:5], v[14:15], -v[10:11]
	v_fma_f64 v[6:7], v[58:59], s[14:15], v[32:33]
	v_fma_f64 v[10:11], v[58:59], s[16:17], v[32:33]
	;; [unrolled: 1-line block ×4, first 2 shown]
	v_add_f64 v[0:1], v[0:1], v[8:9]
	v_add_f64 v[32:33], v[16:17], -v[28:29]
	v_add_f64 v[2:3], v[2:3], v[4:5]
	v_fma_f64 v[4:5], v[56:57], s[10:11], v[6:7]
	v_fma_f64 v[6:7], v[56:57], s[2:3], v[10:11]
	;; [unrolled: 1-line block ×4, first 2 shown]
	v_add_f64 v[14:15], v[20:21], -v[24:25]
	v_fma_f64 v[172:173], v[0:1], s[12:13], v[4:5]
	v_fma_f64 v[176:177], v[0:1], s[12:13], v[6:7]
	;; [unrolled: 1-line block ×4, first 2 shown]
	v_add_f64 v[0:1], v[20:21], -v[16:17]
	v_add_f64 v[2:3], v[24:25], -v[28:29]
	;; [unrolled: 1-line block ×3, first 2 shown]
	v_add_f64 v[6:7], v[18:19], v[30:31]
	v_add_f64 v[8:9], v[22:23], -v[26:27]
	v_add_f64 v[10:11], v[18:19], -v[30:31]
	ds_store_b128 v213, v[160:163]
	ds_store_b128 v213, v[172:175] offset:32
	ds_store_b128 v213, v[164:167] offset:64
	;; [unrolled: 1-line block ×4, first 2 shown]
	v_add_f64 v[0:1], v[0:1], v[2:3]
	v_add_f64 v[2:3], v[22:23], -v[18:19]
	v_fma_f64 v[6:7], v[6:7], -0.5, v[158:159]
	s_delay_alu instid0(VALU_DEP_2) | instskip(SKIP_1) | instid1(VALU_DEP_3)
	v_add_f64 v[2:3], v[2:3], v[4:5]
	v_add_f64 v[4:5], v[16:17], v[28:29]
	v_fma_f64 v[34:35], v[14:15], s[14:15], v[6:7]
	v_fma_f64 v[6:7], v[14:15], s[16:17], v[6:7]
	s_delay_alu instid0(VALU_DEP_3) | instskip(NEXT) | instid1(VALU_DEP_3)
	v_fma_f64 v[4:5], v[4:5], -0.5, v[156:157]
	v_fma_f64 v[34:35], v[32:33], s[2:3], v[34:35]
	s_delay_alu instid0(VALU_DEP_3) | instskip(NEXT) | instid1(VALU_DEP_3)
	v_fma_f64 v[6:7], v[32:33], s[10:11], v[6:7]
	v_fma_f64 v[12:13], v[8:9], s[16:17], v[4:5]
	;; [unrolled: 1-line block ×3, first 2 shown]
	s_delay_alu instid0(VALU_DEP_3)
	v_fma_f64 v[186:187], v[2:3], s[12:13], v[6:7]
	v_add_f64 v[6:7], v[158:159], v[18:19]
	v_fma_f64 v[182:183], v[2:3], s[12:13], v[34:35]
	v_add_f64 v[2:3], v[22:23], v[26:27]
	v_fma_f64 v[12:13], v[10:11], s[10:11], v[12:13]
	v_fma_f64 v[4:5], v[10:11], s[2:3], v[4:5]
	v_add_f64 v[6:7], v[6:7], v[22:23]
	s_delay_alu instid0(VALU_DEP_4) | instskip(NEXT) | instid1(VALU_DEP_4)
	v_fma_f64 v[2:3], v[2:3], -0.5, v[158:159]
	v_fma_f64 v[180:181], v[0:1], s[12:13], v[12:13]
	s_delay_alu instid0(VALU_DEP_4)
	v_fma_f64 v[184:185], v[0:1], s[12:13], v[4:5]
	v_add_f64 v[0:1], v[20:21], v[24:25]
	v_add_f64 v[6:7], v[6:7], v[26:27]
	v_add_f64 v[4:5], v[156:157], v[16:17]
	v_add_f64 v[12:13], v[16:17], -v[20:21]
	v_add_f64 v[16:17], v[18:19], -v[22:23]
	;; [unrolled: 1-line block ×3, first 2 shown]
	v_fma_f64 v[0:1], v[0:1], -0.5, v[156:157]
	v_add_f64 v[158:159], v[6:7], v[30:31]
	v_add_f64 v[4:5], v[4:5], v[20:21]
	s_delay_alu instid0(VALU_DEP_4) | instskip(NEXT) | instid1(VALU_DEP_4)
	v_add_f64 v[12:13], v[12:13], v[18:19]
	v_fma_f64 v[6:7], v[10:11], s[14:15], v[0:1]
	v_fma_f64 v[0:1], v[10:11], s[16:17], v[0:1]
	s_delay_alu instid0(VALU_DEP_4)
	v_add_f64 v[4:5], v[4:5], v[24:25]
	v_fma_f64 v[10:11], v[32:33], s[16:17], v[2:3]
	v_fma_f64 v[2:3], v[32:33], s[14:15], v[2:3]
	;; [unrolled: 1-line block ×4, first 2 shown]
	v_add_f64 v[156:157], v[4:5], v[28:29]
	v_add_f64 v[4:5], v[30:31], -v[26:27]
	v_fma_f64 v[8:9], v[14:15], s[2:3], v[10:11]
	v_fma_f64 v[2:3], v[14:15], s[10:11], v[2:3]
	v_fma_f64 v[188:189], v[12:13], s[12:13], v[6:7]
	v_fma_f64 v[192:193], v[12:13], s[12:13], v[0:1]
	scratch_load_b32 v0, off, off offset:320 ; 4-byte Folded Reload
	v_add_f64 v[4:5], v[16:17], v[4:5]
	s_delay_alu instid0(VALU_DEP_1)
	v_fma_f64 v[190:191], v[4:5], s[12:13], v[8:9]
	v_fma_f64 v[194:195], v[4:5], s[12:13], v[2:3]
	s_waitcnt vmcnt(0)
	ds_store_b128 v0, v[156:159]
	ds_store_b128 v0, v[188:191] offset:32
	ds_store_b128 v0, v[180:183] offset:64
	;; [unrolled: 1-line block ×4, first 2 shown]
	s_and_saveexec_b32 s1, s0
	s_cbranch_execz .LBB0_21
; %bb.20:
	s_clause 0x2
	scratch_load_b128 v[16:19], off, off offset:16
	scratch_load_b128 v[20:23], off, off offset:32
	scratch_load_b128 v[24:27], off, off offset:48
	v_mul_f64 v[2:3], v[42:43], v[152:153]
	v_mul_f64 v[12:13], v[42:43], v[154:155]
	s_delay_alu instid0(VALU_DEP_2) | instskip(NEXT) | instid1(VALU_DEP_2)
	v_fma_f64 v[2:3], v[40:41], v[154:155], -v[2:3]
	v_fma_f64 v[12:13], v[40:41], v[152:153], v[12:13]
	s_delay_alu instid0(VALU_DEP_2) | instskip(NEXT) | instid1(VALU_DEP_2)
	v_add_f64 v[28:29], v[150:151], v[2:3]
	v_add_f64 v[30:31], v[148:149], v[12:13]
	s_waitcnt vmcnt(2)
	v_mul_f64 v[0:1], v[54:55], v[16:17]
	s_waitcnt vmcnt(1)
	v_mul_f64 v[6:7], v[50:51], v[20:21]
	;; [unrolled: 2-line block ×3, first 2 shown]
	v_mul_f64 v[8:9], v[54:55], v[18:19]
	v_mul_f64 v[10:11], v[50:51], v[22:23]
	;; [unrolled: 1-line block ×3, first 2 shown]
	v_fma_f64 v[0:1], v[52:53], v[18:19], -v[0:1]
	v_fma_f64 v[6:7], v[48:49], v[22:23], -v[6:7]
	v_fma_f64 v[4:5], v[44:45], v[26:27], -v[4:5]
	v_fma_f64 v[8:9], v[52:53], v[16:17], v[8:9]
	v_fma_f64 v[10:11], v[48:49], v[20:21], v[10:11]
	;; [unrolled: 1-line block ×3, first 2 shown]
	v_add_f64 v[36:37], v[0:1], -v[2:3]
	v_add_f64 v[18:19], v[0:1], v[6:7]
	v_add_f64 v[16:17], v[2:3], v[4:5]
	v_add_f64 v[32:33], v[2:3], -v[4:5]
	v_add_f64 v[34:35], v[0:1], -v[6:7]
	;; [unrolled: 1-line block ×3, first 2 shown]
	v_add_f64 v[0:1], v[28:29], v[0:1]
	v_add_f64 v[38:39], v[6:7], -v[4:5]
	v_add_f64 v[42:43], v[8:9], -v[12:13]
	;; [unrolled: 1-line block ×3, first 2 shown]
	v_add_f64 v[20:21], v[8:9], v[10:11]
	v_add_f64 v[22:23], v[12:13], v[14:15]
	v_add_f64 v[24:25], v[8:9], -v[10:11]
	v_add_f64 v[26:27], v[12:13], -v[14:15]
	;; [unrolled: 1-line block ×3, first 2 shown]
	v_add_f64 v[8:9], v[30:31], v[8:9]
	v_add_f64 v[40:41], v[4:5], -v[6:7]
	v_add_f64 v[46:47], v[14:15], -v[10:11]
	v_fma_f64 v[18:19], v[18:19], -0.5, v[150:151]
	v_fma_f64 v[16:17], v[16:17], -0.5, v[150:151]
	v_add_f64 v[0:1], v[0:1], v[6:7]
	v_add_f64 v[36:37], v[36:37], v[38:39]
	;; [unrolled: 1-line block ×3, first 2 shown]
	v_fma_f64 v[20:21], v[20:21], -0.5, v[148:149]
	v_fma_f64 v[22:23], v[22:23], -0.5, v[148:149]
	v_add_f64 v[6:7], v[8:9], v[10:11]
	v_add_f64 v[2:3], v[2:3], v[40:41]
	;; [unrolled: 1-line block ×3, first 2 shown]
	v_fma_f64 v[30:31], v[26:27], s[14:15], v[18:19]
	v_fma_f64 v[28:29], v[24:25], s[16:17], v[16:17]
	v_fma_f64 v[16:17], v[24:25], s[14:15], v[16:17]
	v_fma_f64 v[18:19], v[26:27], s[16:17], v[18:19]
	v_add_f64 v[42:43], v[0:1], v[4:5]
	s_clause 0x1
	scratch_load_b32 v0, off, off offset:264
	scratch_load_b32 v1, off, off offset:380
	v_fma_f64 v[48:49], v[32:33], s[14:15], v[20:21]
	v_fma_f64 v[50:51], v[34:35], s[16:17], v[22:23]
	;; [unrolled: 1-line block ×4, first 2 shown]
	v_add_f64 v[40:41], v[6:7], v[14:15]
	v_fma_f64 v[8:9], v[26:27], s[10:11], v[28:29]
	v_fma_f64 v[10:11], v[26:27], s[2:3], v[16:17]
	;; [unrolled: 1-line block ×16, first 2 shown]
	s_waitcnt vmcnt(1)
	v_mul_u32_u24_e32 v0, 10, v0
	s_waitcnt vmcnt(0)
	s_delay_alu instid0(VALU_DEP_1) | instskip(NEXT) | instid1(VALU_DEP_1)
	v_or_b32_e32 v0, v0, v1
	v_lshlrev_b32_e32 v0, 4, v0
	ds_store_b128 v0, v[40:43]
	ds_store_b128 v0, v[72:75] offset:32
	ds_store_b128 v0, v[48:51] offset:64
	;; [unrolled: 1-line block ×4, first 2 shown]
.LBB0_21:
	s_or_b32 exec_lo, exec_lo, s1
	s_waitcnt lgkmcnt(0)
	s_barrier
	buffer_gl0_inv
	ds_load_b128 v[40:43], v201 offset:1760
	ds_load_b128 v[52:55], v201
	scratch_load_b128 v[12:15], off, off offset:268 ; 16-byte Folded Reload
	ds_load_b128 v[44:47], v201 offset:17600
	ds_load_b128 v[48:51], v201 offset:3520
	ds_load_b128 v[72:75], v201 offset:15840
	scratch_load_b128 v[56:59], off, off offset:248 ; 16-byte Folded Reload
	ds_load_b128 v[76:79], v201 offset:5280
	ds_load_b128 v[80:83], v201 offset:14080
	ds_load_b128 v[148:151], v201 offset:12320
	;; [unrolled: 4-line block ×3, first 2 shown]
	s_mov_b32 s0, 0xf8bb580b
	s_mov_b32 s12, 0x8eee2c13
	;; [unrolled: 1-line block ×13, first 2 shown]
	s_waitcnt lgkmcnt(5)
	v_mul_f64 v[18:19], v[94:95], v[78:79]
	s_waitcnt lgkmcnt(4)
	v_mul_f64 v[24:25], v[102:103], v[82:83]
	;; [unrolled: 2-line block ×3, first 2 shown]
	v_mul_f64 v[30:31], v[98:99], v[148:149]
	s_mov_b32 s26, 0x7f775887
	s_waitcnt lgkmcnt(1)
	v_mul_f64 v[32:33], v[114:115], v[158:159]
	v_mul_f64 v[34:35], v[114:115], v[156:157]
	s_waitcnt lgkmcnt(0)
	v_mul_f64 v[36:37], v[110:111], v[60:61]
	s_mov_b32 s25, 0xbfe82f19
	s_mov_b32 s27, 0xbfe4f49e
	;; [unrolled: 1-line block ×16, first 2 shown]
	s_waitcnt vmcnt(2)
	v_mul_f64 v[0:1], v[14:15], v[42:43]
	v_mul_f64 v[2:3], v[14:15], v[40:41]
	s_waitcnt vmcnt(1)
	v_mul_f64 v[4:5], v[58:59], v[44:45]
	v_mul_f64 v[14:15], v[102:103], v[80:81]
	;; [unrolled: 3-line block ×3, first 2 shown]
	scratch_load_b128 v[66:69], off, off offset:300 ; 16-byte Folded Reload
	v_mul_f64 v[16:17], v[58:59], v[46:47]
	v_fma_f64 v[0:1], v[12:13], v[40:41], v[0:1]
	v_fma_f64 v[2:3], v[12:13], v[42:43], -v[2:3]
	v_mul_f64 v[12:13], v[94:95], v[76:77]
	v_fma_f64 v[40:41], v[56:57], v[46:47], -v[4:5]
	v_fma_f64 v[6:7], v[64:65], v[48:49], v[6:7]
	v_fma_f64 v[8:9], v[64:65], v[50:51], -v[8:9]
	v_fma_f64 v[48:49], v[100:101], v[82:83], -v[14:15]
	v_fma_f64 v[14:15], v[92:93], v[76:77], v[18:19]
	v_fma_f64 v[50:51], v[100:101], v[80:81], v[24:25]
	v_fma_f64 v[24:25], v[112:113], v[156:157], v[32:33]
	v_fma_f64 v[44:45], v[56:57], v[44:45], v[16:17]
	v_mul_f64 v[4:5], v[110:111], v[62:63]
	v_add_f64 v[38:39], v[54:55], v[2:3]
	v_fma_f64 v[12:13], v[92:93], v[78:79], -v[12:13]
	s_delay_alu instid0(VALU_DEP_4) | instskip(NEXT) | instid1(VALU_DEP_4)
	v_add_f64 v[56:57], v[0:1], v[44:45]
	v_fma_f64 v[4:5], v[108:109], v[60:61], v[4:5]
	v_add_f64 v[60:61], v[14:15], v[50:51]
	s_delay_alu instid0(VALU_DEP_2)
	v_add_f64 v[76:77], v[24:25], v[4:5]
	v_add_f64 v[84:85], v[24:25], -v[4:5]
	s_waitcnt vmcnt(0)
	v_mul_f64 v[10:11], v[68:69], v[72:73]
	v_mul_f64 v[20:21], v[68:69], v[74:75]
	scratch_load_b128 v[68:71], off, off offset:356 ; 16-byte Folded Reload
	s_waitcnt vmcnt(0)
	s_barrier
	buffer_gl0_inv
	v_fma_f64 v[42:43], v[66:67], v[74:75], -v[10:11]
	v_add_f64 v[10:11], v[52:53], v[0:1]
	v_fma_f64 v[46:47], v[66:67], v[72:73], v[20:21]
	v_fma_f64 v[20:21], v[96:97], v[148:149], v[28:29]
	v_add_f64 v[28:29], v[2:3], -v[40:41]
	v_add_f64 v[2:3], v[2:3], v[40:41]
	v_add_f64 v[0:1], v[0:1], -v[44:45]
	v_add_f64 v[32:33], v[8:9], -v[42:43]
	v_add_f64 v[10:11], v[10:11], v[6:7]
	v_add_f64 v[58:59], v[6:7], v[46:47]
	v_add_f64 v[6:7], v[6:7], -v[46:47]
	v_mul_f64 v[72:73], v[28:29], s[0:1]
	v_mul_f64 v[80:81], v[28:29], s[12:13]
	;; [unrolled: 1-line block ×11, first 2 shown]
	v_add_f64 v[10:11], v[10:11], v[14:15]
	v_fma_f64 v[164:165], v[56:57], s[2:3], v[72:73]
	v_fma_f64 v[72:73], v[56:57], s[2:3], -v[72:73]
	v_fma_f64 v[168:169], v[56:57], s[14:15], v[80:81]
	v_fma_f64 v[170:171], v[0:1], s[16:17], v[82:83]
	;; [unrolled: 1-line block ×8, first 2 shown]
	v_fma_f64 v[80:81], v[56:57], s[14:15], -v[80:81]
	v_fma_f64 v[82:83], v[0:1], s[12:13], v[82:83]
	v_fma_f64 v[90:91], v[0:1], s[18:19], v[90:91]
	v_fma_f64 v[92:93], v[56:57], s[26:27], -v[92:93]
	v_fma_f64 v[88:89], v[56:57], s[20:21], -v[88:89]
	v_fma_f64 v[184:185], v[58:59], s[34:35], v[100:101]
	v_fma_f64 v[100:101], v[58:59], s[34:35], -v[100:101]
	v_add_f64 v[164:165], v[52:53], v[164:165]
	v_add_f64 v[72:73], v[52:53], v[72:73]
	v_add_f64 v[168:169], v[52:53], v[168:169]
	v_add_f64 v[170:171], v[54:55], v[170:171]
	v_add_f64 v[166:167], v[54:55], v[166:167]
	v_add_f64 v[74:75], v[54:55], v[74:75]
	v_add_f64 v[172:173], v[52:53], v[172:173]
	v_add_f64 v[174:175], v[54:55], v[174:175]
	v_add_f64 v[176:177], v[52:53], v[176:177]
	v_add_f64 v[178:179], v[54:55], v[178:179]
	v_add_f64 v[80:81], v[52:53], v[80:81]
	v_add_f64 v[82:83], v[54:55], v[82:83]
	v_add_f64 v[90:91], v[54:55], v[90:91]
	v_add_f64 v[92:93], v[52:53], v[92:93]
	v_add_f64 v[88:89], v[52:53], v[88:89]
	v_add_f64 v[172:173], v[184:185], v[172:173]
	s_delay_alu instid0(VALU_DEP_2) | instskip(SKIP_2) | instid1(VALU_DEP_2)
	v_add_f64 v[88:89], v[100:101], v[88:89]
	v_mul_f64 v[26:27], v[70:71], v[152:153]
	v_mul_f64 v[22:23], v[70:71], v[154:155]
	v_fma_f64 v[18:19], v[68:69], v[154:155], -v[26:27]
	v_fma_f64 v[26:27], v[112:113], v[158:159], -v[34:35]
	v_add_f64 v[34:35], v[8:9], v[42:43]
	v_add_f64 v[8:9], v[38:39], v[8:9]
	v_fma_f64 v[16:17], v[68:69], v[152:153], v[22:23]
	v_fma_f64 v[22:23], v[96:97], v[150:151], -v[30:31]
	v_fma_f64 v[30:31], v[108:109], v[62:63], -v[36:37]
	v_add_f64 v[36:37], v[12:13], -v[48:49]
	v_add_f64 v[38:39], v[12:13], v[48:49]
	v_mul_f64 v[96:97], v[32:33], s[12:13]
	v_add_f64 v[62:63], v[14:15], -v[50:51]
	v_mul_f64 v[108:109], v[32:33], s[22:23]
	v_mul_f64 v[98:99], v[34:35], s[26:27]
	v_add_f64 v[8:9], v[8:9], v[12:13]
	v_add_f64 v[10:11], v[10:11], v[16:17]
	v_mul_f64 v[12:13], v[32:33], s[24:25]
	v_mul_f64 v[14:15], v[34:35], s[14:15]
	;; [unrolled: 1-line block ×4, first 2 shown]
	v_add_f64 v[64:65], v[16:17], v[20:21]
	v_add_f64 v[66:67], v[18:19], v[22:23]
	v_add_f64 v[68:69], v[18:19], -v[22:23]
	v_add_f64 v[70:71], v[16:17], -v[20:21]
	v_mul_f64 v[32:33], v[32:33], s[10:11]
	v_mul_f64 v[34:35], v[34:35], s[2:3]
	v_fma_f64 v[16:17], v[0:1], s[24:25], v[94:95]
	v_fma_f64 v[94:95], v[0:1], s[36:37], v[2:3]
	;; [unrolled: 1-line block ×3, first 2 shown]
	v_mul_f64 v[112:113], v[36:37], s[18:19]
	v_mul_f64 v[114:115], v[38:39], s[20:21]
	;; [unrolled: 1-line block ×10, first 2 shown]
	v_fma_f64 v[2:3], v[58:59], s[14:15], v[96:97]
	v_fma_f64 v[96:97], v[58:59], s[14:15], -v[96:97]
	v_fma_f64 v[188:189], v[58:59], s[20:21], v[108:109]
	v_fma_f64 v[108:109], v[58:59], s[20:21], -v[108:109]
	v_add_f64 v[78:79], v[26:27], v[30:31]
	v_add_f64 v[86:87], v[26:27], -v[30:31]
	v_fma_f64 v[182:183], v[6:7], s[28:29], v[98:99]
	v_add_f64 v[8:9], v[8:9], v[18:19]
	v_fma_f64 v[18:19], v[56:57], s[34:35], v[28:29]
	v_fma_f64 v[28:29], v[56:57], s[34:35], -v[28:29]
	v_add_f64 v[10:11], v[10:11], v[24:25]
	v_fma_f64 v[180:181], v[58:59], s[26:27], v[12:13]
	v_fma_f64 v[56:57], v[6:7], s[16:17], v[14:15]
	;; [unrolled: 1-line block ×5, first 2 shown]
	v_fma_f64 v[12:13], v[58:59], s[26:27], -v[12:13]
	v_fma_f64 v[192:193], v[58:59], s[2:3], v[32:33]
	v_fma_f64 v[194:195], v[6:7], s[0:1], v[34:35]
	;; [unrolled: 1-line block ×3, first 2 shown]
	v_add_f64 v[94:95], v[54:55], v[94:95]
	v_fma_f64 v[102:103], v[6:7], s[36:37], v[102:103]
	v_fma_f64 v[110:111], v[6:7], s[22:23], v[110:111]
	v_fma_f64 v[32:33], v[58:59], s[2:3], -v[32:33]
	v_fma_f64 v[6:7], v[6:7], s[10:11], v[34:35]
	v_add_f64 v[0:1], v[54:55], v[0:1]
	v_add_f64 v[16:17], v[54:55], v[16:17]
	v_fma_f64 v[34:35], v[60:61], s[20:21], v[112:113]
	v_fma_f64 v[58:59], v[62:63], s[22:23], v[114:115]
	v_fma_f64 v[112:113], v[60:61], s[20:21], -v[112:113]
	v_fma_f64 v[114:115], v[62:63], s[18:19], v[114:115]
	v_fma_f64 v[196:197], v[60:61], s[34:35], v[148:149]
	;; [unrolled: 1-line block ×3, first 2 shown]
	v_fma_f64 v[148:149], v[60:61], s[34:35], -v[148:149]
	v_fma_f64 v[150:151], v[62:63], s[36:37], v[150:151]
	v_fma_f64 v[24:25], v[60:61], s[14:15], v[152:153]
	v_fma_f64 v[152:153], v[60:61], s[14:15], -v[152:153]
	v_fma_f64 v[202:203], v[60:61], s[2:3], v[156:157]
	v_fma_f64 v[54:55], v[60:61], s[2:3], -v[156:157]
	v_fma_f64 v[156:157], v[62:63], s[0:1], v[158:159]
	v_add_f64 v[2:3], v[2:3], v[164:165]
	v_mul_f64 v[164:165], v[66:67], s[20:21]
	v_add_f64 v[72:73], v[96:97], v[72:73]
	v_mul_f64 v[96:97], v[68:69], s[0:1]
	v_add_f64 v[170:171], v[182:183], v[170:171]
	v_add_f64 v[8:9], v[8:9], v[26:27]
	;; [unrolled: 1-line block ×5, first 2 shown]
	v_fma_f64 v[26:27], v[62:63], s[12:13], v[154:155]
	v_fma_f64 v[154:155], v[62:63], s[16:17], v[154:155]
	;; [unrolled: 1-line block ×4, first 2 shown]
	v_fma_f64 v[36:37], v[60:61], s[26:27], -v[36:37]
	v_fma_f64 v[60:61], v[62:63], s[28:29], v[38:39]
	v_fma_f64 v[38:39], v[62:63], s[24:25], v[38:39]
	v_mul_f64 v[62:63], v[68:69], s[22:23]
	v_add_f64 v[168:169], v[180:181], v[168:169]
	v_add_f64 v[14:15], v[14:15], v[74:75]
	v_mul_f64 v[74:75], v[66:67], s[2:3]
	v_add_f64 v[174:175], v[186:187], v[174:175]
	v_mul_f64 v[160:161], v[68:69], s[24:25]
	v_mul_f64 v[10:11], v[68:69], s[30:31]
	v_add_f64 v[176:177], v[188:189], v[176:177]
	v_add_f64 v[178:179], v[190:191], v[178:179]
	v_mul_f64 v[162:163], v[66:67], s[26:27]
	v_mul_f64 v[68:69], v[68:69], s[16:17]
	v_add_f64 v[94:95], v[194:195], v[94:95]
	v_add_f64 v[12:13], v[12:13], v[80:81]
	;; [unrolled: 1-line block ×7, first 2 shown]
	v_mul_f64 v[80:81], v[86:87], s[10:11]
	v_mul_f64 v[184:185], v[78:79], s[2:3]
	;; [unrolled: 1-line block ×4, first 2 shown]
	v_add_f64 v[2:3], v[34:35], v[2:3]
	v_add_f64 v[24:25], v[24:25], v[172:173]
	;; [unrolled: 1-line block ×3, first 2 shown]
	v_mul_f64 v[180:181], v[86:87], s[30:31]
	v_add_f64 v[112:113], v[198:199], v[170:171]
	v_add_f64 v[8:9], v[8:9], v[30:31]
	v_mul_f64 v[30:31], v[66:67], s[34:35]
	v_mul_f64 v[66:67], v[66:67], s[14:15]
	v_add_f64 v[18:19], v[192:193], v[18:19]
	v_add_f64 v[28:29], v[32:33], v[28:29]
	;; [unrolled: 1-line block ×4, first 2 shown]
	v_fma_f64 v[32:33], v[70:71], s[18:19], v[164:165]
	v_mul_f64 v[188:189], v[86:87], s[16:17]
	v_mul_f64 v[190:191], v[78:79], s[14:15]
	v_fma_f64 v[90:91], v[64:65], s[2:3], -v[96:97]
	v_fma_f64 v[194:195], v[64:65], s[20:21], v[62:63]
	v_add_f64 v[72:73], v[196:197], v[168:169]
	v_add_f64 v[14:15], v[114:115], v[14:15]
	v_fma_f64 v[56:57], v[70:71], s[10:11], v[74:75]
	v_add_f64 v[26:27], v[26:27], v[174:175]
	v_fma_f64 v[108:109], v[64:65], s[26:27], v[160:161]
	v_mul_f64 v[182:183], v[78:79], s[34:35]
	v_add_f64 v[114:115], v[202:203], v[176:177]
	v_add_f64 v[52:53], v[52:53], v[178:179]
	v_mul_f64 v[86:87], v[86:87], s[18:19]
	v_mul_f64 v[78:79], v[78:79], s[20:21]
	v_fma_f64 v[102:103], v[64:65], s[14:15], v[68:69]
	v_add_f64 v[60:61], v[60:61], v[94:95]
	v_fma_f64 v[160:161], v[64:65], s[26:27], -v[160:161]
	v_fma_f64 v[62:63], v[64:65], s[20:21], -v[62:63]
	v_add_f64 v[12:13], v[148:149], v[12:13]
	v_add_f64 v[0:1], v[38:39], v[0:1]
	v_add_f64 v[54:55], v[54:55], v[92:93]
	v_add_f64 v[6:7], v[156:157], v[6:7]
	v_fma_f64 v[74:75], v[70:71], s[0:1], v[74:75]
	v_add_f64 v[88:89], v[152:153], v[88:89]
	v_add_f64 v[16:17], v[154:155], v[16:17]
	v_fma_f64 v[164:165], v[70:71], s[22:23], v[164:165]
	v_fma_f64 v[192:193], v[70:71], s[28:29], v[162:163]
	;; [unrolled: 1-line block ×5, first 2 shown]
	v_add_f64 v[8:9], v[8:9], v[22:23]
	v_fma_f64 v[22:23], v[64:65], s[2:3], v[96:97]
	v_fma_f64 v[96:97], v[64:65], s[34:35], v[10:11]
	v_fma_f64 v[98:99], v[70:71], s[36:37], v[30:31]
	v_fma_f64 v[110:111], v[70:71], s[12:13], v[66:67]
	v_add_f64 v[18:19], v[158:159], v[18:19]
	v_fma_f64 v[10:11], v[64:65], s[34:35], -v[10:11]
	v_fma_f64 v[64:65], v[64:65], s[14:15], -v[68:69]
	v_fma_f64 v[66:67], v[70:71], s[16:17], v[66:67]
	v_add_f64 v[28:29], v[36:37], v[28:29]
	v_fma_f64 v[30:31], v[70:71], s[30:31], v[30:31]
	v_add_f64 v[36:37], v[150:151], v[82:83]
	v_add_f64 v[4:5], v[4:5], v[50:51]
	;; [unrolled: 1-line block ×3, first 2 shown]
	v_fma_f64 v[58:59], v[84:85], s[0:1], v[184:185]
	v_add_f64 v[50:51], v[194:195], v[72:73]
	v_add_f64 v[32:33], v[32:33], v[112:113]
	v_fma_f64 v[94:95], v[84:85], s[28:29], v[100:101]
	v_fma_f64 v[68:69], v[76:77], s[34:35], v[180:181]
	;; [unrolled: 1-line block ×4, first 2 shown]
	v_add_f64 v[2:3], v[108:109], v[2:3]
	v_fma_f64 v[70:71], v[76:77], s[34:35], -v[180:181]
	v_fma_f64 v[80:81], v[76:77], s[2:3], -v[80:81]
	;; [unrolled: 1-line block ×4, first 2 shown]
	v_fma_f64 v[158:159], v[76:77], s[20:21], v[86:87]
	v_fma_f64 v[168:169], v[84:85], s[22:23], v[78:79]
	v_fma_f64 v[86:87], v[76:77], s[20:21], -v[86:87]
	v_fma_f64 v[166:167], v[84:85], s[36:37], v[182:183]
	v_fma_f64 v[180:181], v[84:85], s[30:31], v[182:183]
	;; [unrolled: 1-line block ×6, first 2 shown]
	v_add_f64 v[12:13], v[62:63], v[12:13]
	v_add_f64 v[34:35], v[160:161], v[34:35]
	;; [unrolled: 1-line block ×42, first 2 shown]
	ds_store_b128 v214, v[50:53] offset:320
	ds_store_b128 v214, v[58:61] offset:480
	;; [unrolled: 1-line block ×9, first 2 shown]
	ds_store_b128 v214, v[88:91]
	ds_store_b128 v214, v[42:45] offset:160
	s_waitcnt lgkmcnt(0)
	s_barrier
	buffer_gl0_inv
	ds_load_b128 v[40:43], v201 offset:1760
	ds_load_b128 v[52:55], v201
	scratch_load_b128 v[12:15], off, off offset:340 ; 16-byte Folded Reload
	ds_load_b128 v[46:49], v201 offset:17600
	ds_load_b128 v[56:59], v201 offset:3520
	;; [unrolled: 1-line block ×9, first 2 shown]
	s_waitcnt lgkmcnt(5)
	v_mul_f64 v[18:19], v[130:131], v[66:67]
	v_mul_f64 v[4:5], v[122:123], v[46:47]
	;; [unrolled: 1-line block ×7, first 2 shown]
	s_waitcnt lgkmcnt(3)
	v_mul_f64 v[26:27], v[126:127], v[72:73]
	s_waitcnt lgkmcnt(1)
	v_mul_f64 v[28:29], v[134:135], v[82:83]
	;; [unrolled: 2-line block ×3, first 2 shown]
	v_mul_f64 v[36:37], v[142:143], v[78:79]
	v_mul_f64 v[22:23], v[126:127], v[74:75]
	;; [unrolled: 1-line block ×6, first 2 shown]
	v_fma_f64 v[44:45], v[116:117], v[62:63], -v[8:9]
	v_fma_f64 v[50:51], v[136:137], v[68:69], v[24:25]
	s_delay_alu instid0(VALU_DEP_4) | instskip(SKIP_4) | instid1(VALU_DEP_3)
	v_fma_f64 v[24:25], v[144:145], v[86:87], v[32:33]
	s_waitcnt vmcnt(0)
	v_mul_f64 v[0:1], v[14:15], v[42:43]
	v_mul_f64 v[2:3], v[14:15], v[40:41]
	;; [unrolled: 1-line block ×3, first 2 shown]
	v_fma_f64 v[0:1], v[12:13], v[40:41], v[0:1]
	s_delay_alu instid0(VALU_DEP_3)
	v_fma_f64 v[2:3], v[12:13], v[42:43], -v[2:3]
	v_mul_f64 v[12:13], v[130:131], v[64:65]
	v_fma_f64 v[40:41], v[120:121], v[48:49], -v[4:5]
	v_fma_f64 v[4:5], v[104:105], v[58:59], -v[6:7]
	v_fma_f64 v[6:7], v[104:105], v[56:57], v[10:11]
	v_fma_f64 v[48:49], v[136:137], v[70:71], -v[14:15]
	v_fma_f64 v[42:43], v[120:121], v[46:47], v[16:17]
	v_fma_f64 v[14:15], v[128:129], v[64:65], v[18:19]
	;; [unrolled: 1-line block ×3, first 2 shown]
	v_fma_f64 v[18:19], v[124:125], v[74:75], -v[26:27]
	v_fma_f64 v[20:21], v[132:133], v[80:81], v[28:29]
	v_fma_f64 v[26:27], v[144:145], v[88:89], -v[34:35]
	v_fma_f64 v[28:29], v[140:141], v[76:77], v[36:37]
	v_fma_f64 v[16:17], v[124:125], v[72:73], v[22:23]
	v_fma_f64 v[22:23], v[132:133], v[82:83], -v[30:31]
	v_fma_f64 v[30:31], v[140:141], v[78:79], -v[38:39]
	v_add_f64 v[8:9], v[52:53], v[0:1]
	v_add_f64 v[10:11], v[54:55], v[2:3]
	v_fma_f64 v[12:13], v[128:129], v[66:67], -v[12:13]
	v_add_f64 v[32:33], v[2:3], -v[40:41]
	v_add_f64 v[34:35], v[4:5], -v[44:45]
	v_add_f64 v[36:37], v[4:5], v[44:45]
	v_add_f64 v[2:3], v[2:3], v[40:41]
	v_add_f64 v[56:57], v[0:1], v[42:43]
	v_add_f64 v[0:1], v[0:1], -v[42:43]
	v_add_f64 v[58:59], v[6:7], v[46:47]
	v_add_f64 v[60:61], v[14:15], v[50:51]
	v_add_f64 v[62:63], v[14:15], -v[50:51]
	v_add_f64 v[72:73], v[24:25], v[28:29]
	v_add_f64 v[64:65], v[16:17], v[20:21]
	;; [unrolled: 1-line block ×4, first 2 shown]
	v_add_f64 v[68:69], v[18:19], -v[22:23]
	v_add_f64 v[70:71], v[16:17], -v[20:21]
	;; [unrolled: 1-line block ×4, first 2 shown]
	v_add_f64 v[8:9], v[8:9], v[6:7]
	v_add_f64 v[4:5], v[10:11], v[4:5]
	v_add_f64 v[10:11], v[12:13], -v[48:49]
	v_mul_f64 v[80:81], v[32:33], s[0:1]
	v_mul_f64 v[84:85], v[32:33], s[12:13]
	;; [unrolled: 1-line block ×10, first 2 shown]
	v_add_f64 v[38:39], v[12:13], v[48:49]
	v_add_f64 v[6:7], v[6:7], -v[46:47]
	v_mul_f64 v[96:97], v[34:35], s[12:13]
	v_mul_f64 v[98:99], v[36:37], s[14:15]
	;; [unrolled: 1-line block ×23, first 2 shown]
	v_add_f64 v[8:9], v[8:9], v[14:15]
	v_add_f64 v[4:5], v[4:5], v[12:13]
	v_mul_f64 v[12:13], v[36:37], s[26:27]
	v_mul_f64 v[14:15], v[34:35], s[36:37]
	v_fma_f64 v[156:157], v[56:57], s[14:15], v[84:85]
	v_fma_f64 v[84:85], v[56:57], s[14:15], -v[84:85]
	v_fma_f64 v[160:161], v[56:57], s[20:21], v[88:89]
	v_fma_f64 v[158:159], v[0:1], s[16:17], v[86:87]
	;; [unrolled: 1-line block ×3, first 2 shown]
	v_fma_f64 v[88:89], v[56:57], s[20:21], -v[88:89]
	v_fma_f64 v[164:165], v[56:57], s[26:27], v[92:93]
	v_fma_f64 v[166:167], v[0:1], s[28:29], v[94:95]
	v_mul_f64 v[34:35], v[34:35], s[10:11]
	v_mul_f64 v[36:37], v[36:37], s[2:3]
	v_fma_f64 v[92:93], v[56:57], s[26:27], -v[92:93]
	v_fma_f64 v[168:169], v[56:57], s[34:35], v[32:33]
	v_fma_f64 v[170:171], v[0:1], s[36:37], v[2:3]
	;; [unrolled: 1-line block ×5, first 2 shown]
	v_fma_f64 v[32:33], v[56:57], s[34:35], -v[32:33]
	v_mul_f64 v[108:109], v[10:11], s[18:19]
	v_mul_f64 v[110:111], v[38:39], s[20:21]
	;; [unrolled: 1-line block ×4, first 2 shown]
	v_fma_f64 v[172:173], v[58:59], s[26:27], v[100:101]
	v_mul_f64 v[116:117], v[10:11], s[16:17]
	v_mul_f64 v[118:119], v[38:39], s[14:15]
	v_fma_f64 v[100:101], v[58:59], s[26:27], -v[100:101]
	v_fma_f64 v[178:179], v[6:7], s[30:31], v[102:103]
	v_mul_f64 v[120:121], v[10:11], s[0:1]
	v_mul_f64 v[122:123], v[38:39], s[2:3]
	v_fma_f64 v[180:181], v[58:59], s[20:21], v[104:105]
	v_fma_f64 v[182:183], v[6:7], s[18:19], v[106:107]
	v_mul_f64 v[10:11], v[10:11], s[24:25]
	v_mul_f64 v[38:39], v[38:39], s[26:27]
	v_fma_f64 v[104:105], v[58:59], s[20:21], -v[104:105]
	v_fma_f64 v[102:103], v[6:7], s[36:37], v[102:103]
	v_add_f64 v[8:9], v[8:9], v[16:17]
	v_add_f64 v[4:5], v[4:5], v[18:19]
	v_mul_f64 v[16:17], v[74:75], s[20:21]
	v_fma_f64 v[18:19], v[56:57], s[2:3], v[80:81]
	v_fma_f64 v[74:75], v[0:1], s[10:11], v[82:83]
	v_fma_f64 v[80:81], v[56:57], s[2:3], -v[80:81]
	v_fma_f64 v[82:83], v[0:1], s[0:1], v[82:83]
	v_fma_f64 v[0:1], v[0:1], s[30:31], v[2:3]
	;; [unrolled: 1-line block ×4, first 2 shown]
	v_fma_f64 v[96:97], v[58:59], s[14:15], -v[96:97]
	v_fma_f64 v[98:99], v[6:7], s[12:13], v[98:99]
	v_fma_f64 v[174:175], v[6:7], s[28:29], v[12:13]
	v_add_f64 v[156:157], v[52:53], v[156:157]
	v_add_f64 v[158:159], v[54:55], v[158:159]
	v_fma_f64 v[176:177], v[58:59], s[34:35], v[14:15]
	v_add_f64 v[84:85], v[52:53], v[84:85]
	v_add_f64 v[160:161], v[52:53], v[160:161]
	;; [unrolled: 1-line block ×3, first 2 shown]
	v_fma_f64 v[14:15], v[58:59], s[34:35], -v[14:15]
	v_add_f64 v[88:89], v[52:53], v[88:89]
	v_add_f64 v[164:165], v[52:53], v[164:165]
	;; [unrolled: 1-line block ×6, first 2 shown]
	v_fma_f64 v[12:13], v[6:7], s[24:25], v[12:13]
	v_add_f64 v[32:33], v[52:53], v[32:33]
	v_add_f64 v[90:91], v[54:55], v[90:91]
	;; [unrolled: 1-line block ×3, first 2 shown]
	v_fma_f64 v[184:185], v[60:61], s[34:35], v[112:113]
	v_fma_f64 v[186:187], v[62:63], s[30:31], v[114:115]
	;; [unrolled: 1-line block ×4, first 2 shown]
	v_fma_f64 v[116:117], v[60:61], s[14:15], -v[116:117]
	v_fma_f64 v[112:113], v[60:61], s[34:35], -v[112:113]
	v_fma_f64 v[118:119], v[62:63], s[16:17], v[118:119]
	v_fma_f64 v[114:115], v[62:63], s[36:37], v[114:115]
	v_add_f64 v[8:9], v[8:9], v[24:25]
	v_add_f64 v[4:5], v[4:5], v[26:27]
	v_fma_f64 v[24:25], v[6:7], s[22:23], v[106:107]
	v_add_f64 v[18:19], v[52:53], v[18:19]
	v_fma_f64 v[26:27], v[58:59], s[2:3], v[34:35]
	v_add_f64 v[80:81], v[52:53], v[80:81]
	v_add_f64 v[82:83], v[54:55], v[82:83]
	v_fma_f64 v[106:107], v[6:7], s[0:1], v[36:37]
	v_fma_f64 v[34:35], v[58:59], s[2:3], -v[34:35]
	v_fma_f64 v[6:7], v[6:7], s[10:11], v[36:37]
	v_add_f64 v[0:1], v[54:55], v[0:1]
	v_add_f64 v[52:53], v[54:55], v[94:95]
	v_fma_f64 v[36:37], v[60:61], s[20:21], v[108:109]
	v_fma_f64 v[58:59], v[62:63], s[22:23], v[110:111]
	;; [unrolled: 1-line block ×3, first 2 shown]
	v_fma_f64 v[108:109], v[60:61], s[20:21], -v[108:109]
	v_add_f64 v[84:85], v[100:101], v[84:85]
	v_fma_f64 v[94:95], v[62:63], s[0:1], v[122:123]
	v_add_f64 v[100:101], v[178:179], v[162:163]
	v_mul_f64 v[152:153], v[78:79], s[16:17]
	v_add_f64 v[14:15], v[14:15], v[88:89]
	v_add_f64 v[88:89], v[180:181], v[164:165]
	v_mul_f64 v[78:79], v[78:79], s[18:19]
	v_add_f64 v[92:93], v[104:105], v[92:93]
	v_fma_f64 v[192:193], v[64:65], s[20:21], v[128:129]
	v_fma_f64 v[194:195], v[70:71], s[18:19], v[130:131]
	v_fma_f64 v[128:129], v[64:65], s[20:21], -v[128:129]
	v_fma_f64 v[130:131], v[70:71], s[22:23], v[130:131]
	v_add_f64 v[12:13], v[12:13], v[86:87]
	v_fma_f64 v[86:87], v[70:71], s[36:37], v[138:139]
	v_add_f64 v[8:9], v[8:9], v[28:29]
	v_add_f64 v[4:5], v[4:5], v[30:31]
	;; [unrolled: 1-line block ×4, first 2 shown]
	v_fma_f64 v[30:31], v[60:61], s[2:3], v[120:121]
	v_add_f64 v[18:19], v[96:97], v[80:81]
	v_add_f64 v[80:81], v[98:99], v[82:83]
	;; [unrolled: 1-line block ×5, first 2 shown]
	v_fma_f64 v[54:55], v[62:63], s[10:11], v[122:123]
	v_add_f64 v[156:157], v[182:183], v[166:167]
	v_fma_f64 v[74:75], v[60:61], s[2:3], -v[120:121]
	v_fma_f64 v[120:121], v[60:61], s[26:27], v[10:11]
	v_fma_f64 v[122:123], v[62:63], s[28:29], v[38:39]
	v_add_f64 v[26:27], v[26:27], v[168:169]
	v_add_f64 v[104:105], v[106:107], v[170:171]
	v_fma_f64 v[10:11], v[60:61], s[26:27], -v[10:11]
	v_fma_f64 v[38:39], v[62:63], s[24:25], v[38:39]
	v_add_f64 v[32:33], v[34:35], v[32:33]
	v_add_f64 v[0:1], v[6:7], v[0:1]
	;; [unrolled: 1-line block ×4, first 2 shown]
	v_fma_f64 v[60:61], v[64:65], s[26:27], v[124:125]
	v_fma_f64 v[124:125], v[64:65], s[26:27], -v[124:125]
	v_fma_f64 v[34:35], v[64:65], s[2:3], -v[132:133]
	v_add_f64 v[14:15], v[116:117], v[14:15]
	v_fma_f64 v[106:107], v[64:65], s[14:15], v[68:69]
	v_add_f64 v[84:85], v[112:113], v[84:85]
	v_fma_f64 v[90:91], v[64:65], s[34:35], -v[136:137]
	v_fma_f64 v[102:103], v[70:71], s[30:31], v[138:139]
	v_fma_f64 v[52:53], v[70:71], s[0:1], v[134:135]
	v_add_f64 v[12:13], v[114:115], v[12:13]
	v_fma_f64 v[62:63], v[70:71], s[28:29], v[126:127]
	v_fma_f64 v[126:127], v[70:71], s[24:25], v[126:127]
	v_fma_f64 v[114:115], v[72:73], s[14:15], -v[152:153]
	v_fma_f64 v[112:113], v[76:77], s[12:13], v[154:155]
	v_fma_f64 v[116:117], v[76:77], s[16:17], v[154:155]
	v_add_f64 v[8:9], v[8:9], v[20:21]
	v_add_f64 v[4:5], v[4:5], v[22:23]
	;; [unrolled: 1-line block ×4, first 2 shown]
	v_fma_f64 v[22:23], v[64:65], s[2:3], v[132:133]
	v_fma_f64 v[28:29], v[70:71], s[10:11], v[134:135]
	v_add_f64 v[36:37], v[110:111], v[80:81]
	v_add_f64 v[80:81], v[184:185], v[82:83]
	;; [unrolled: 1-line block ×5, first 2 shown]
	v_fma_f64 v[56:57], v[64:65], s[34:35], v[136:137]
	v_add_f64 v[18:19], v[108:109], v[18:19]
	v_add_f64 v[30:31], v[30:31], v[88:89]
	;; [unrolled: 1-line block ×3, first 2 shown]
	v_fma_f64 v[132:133], v[70:71], s[12:13], v[66:67]
	v_add_f64 v[26:27], v[120:121], v[26:27]
	v_add_f64 v[88:89], v[122:123], v[104:105]
	v_fma_f64 v[64:65], v[64:65], s[14:15], -v[68:69]
	v_fma_f64 v[66:67], v[70:71], s[16:17], v[66:67]
	v_add_f64 v[10:11], v[10:11], v[32:33]
	v_add_f64 v[0:1], v[38:39], v[0:1]
	;; [unrolled: 1-line block ×5, first 2 shown]
	v_fma_f64 v[68:69], v[72:73], s[34:35], v[140:141]
	v_fma_f64 v[70:71], v[72:73], s[34:35], -v[140:141]
	v_fma_f64 v[32:33], v[72:73], s[2:3], v[144:145]
	v_fma_f64 v[38:39], v[76:77], s[0:1], v[146:147]
	;; [unrolled: 1-line block ×3, first 2 shown]
	v_fma_f64 v[104:105], v[72:73], s[26:27], -v[148:149]
	v_fma_f64 v[110:111], v[72:73], s[14:15], v[152:153]
	v_fma_f64 v[118:119], v[72:73], s[20:21], v[78:79]
	v_fma_f64 v[122:123], v[72:73], s[20:21], -v[78:79]
	v_fma_f64 v[100:101], v[76:77], s[28:29], v[150:151]
	v_add_f64 v[14:15], v[34:35], v[14:15]
	v_fma_f64 v[134:135], v[76:77], s[36:37], v[142:143]
	v_fma_f64 v[136:137], v[76:77], s[30:31], v[142:143]
	v_add_f64 v[8:9], v[8:9], v[50:51]
	v_add_f64 v[4:5], v[4:5], v[48:49]
	;; [unrolled: 1-line block ×3, first 2 shown]
	v_fma_f64 v[58:59], v[72:73], s[2:3], -v[144:145]
	v_add_f64 v[2:3], v[60:61], v[2:3]
	v_fma_f64 v[92:93], v[76:77], s[10:11], v[146:147]
	v_fma_f64 v[108:109], v[76:77], s[24:25], v[150:151]
	v_add_f64 v[60:61], v[192:193], v[80:81]
	v_add_f64 v[72:73], v[194:195], v[82:83]
	;; [unrolled: 1-line block ×4, first 2 shown]
	v_fma_f64 v[120:121], v[76:77], s[22:23], v[16:17]
	v_add_f64 v[18:19], v[124:125], v[18:19]
	v_add_f64 v[30:31], v[56:57], v[30:31]
	;; [unrolled: 1-line block ×3, first 2 shown]
	v_fma_f64 v[16:17], v[76:77], s[18:19], v[16:17]
	v_add_f64 v[76:77], v[128:129], v[84:85]
	v_add_f64 v[26:27], v[106:107], v[26:27]
	;; [unrolled: 1-line block ×10, first 2 shown]
	s_mul_i32 s1, s5, 0x25d
	s_mul_hi_u32 s2, s4, 0x25d
	s_mul_i32 s0, s4, 0x25d
	s_mul_hi_u32 s3, s4, 0xfffffe11
	s_add_i32 s1, s2, s1
	v_add_f64 v[64:65], v[104:105], v[14:15]
	v_add_f64 v[8:9], v[8:9], v[46:47]
	;; [unrolled: 1-line block ×5, first 2 shown]
	v_mad_u64_u32 v[2:3], null, s4, v255, 0
	v_add_f64 v[52:53], v[32:33], v[60:61]
	v_add_f64 v[54:55], v[38:39], v[72:73]
	;; [unrolled: 1-line block ×20, first 2 shown]
	ds_store_b128 v201, v[52:55] offset:3520
	ds_store_b128 v201, v[60:63] offset:5280
	;; [unrolled: 1-line block ×9, first 2 shown]
	ds_store_b128 v201, v[84:87]
	ds_store_b128 v201, v[44:47] offset:1760
	s_waitcnt lgkmcnt(0)
	s_barrier
	buffer_gl0_inv
	ds_load_b128 v[40:43], v201
	ds_load_b128 v[44:47], v201 offset:9680
	scratch_load_b64 v[0:1], off, off offset:64 ; 8-byte Folded Reload
	ds_load_b128 v[48:51], v201 offset:1760
	ds_load_b128 v[52:55], v201 offset:11440
	;; [unrolled: 1-line block ×8, first 2 shown]
	s_clause 0x3
	scratch_load_b128 v[88:91], off, off offset:72
	scratch_load_b128 v[96:99], off, off offset:136
	;; [unrolled: 1-line block ×4, first 2 shown]
	s_waitcnt vmcnt(4)
	v_mov_b32_e32 v6, v0
	s_waitcnt vmcnt(3) lgkmcnt(9)
	v_mul_f64 v[7:8], v[90:91], v[40:41]
	s_waitcnt vmcnt(2) lgkmcnt(6)
	v_mul_f64 v[17:18], v[98:99], v[54:55]
	v_mad_u64_u32 v[0:1], null, s6, v6, 0
	v_mul_f64 v[19:20], v[98:99], v[52:53]
	s_mul_i32 s6, s4, 0xfffffe11
	s_sub_i32 s4, s3, s4
	s_lshl_b64 s[2:3], s[0:1], 4
	s_delay_alu instid0(VALU_DEP_2)
	v_mad_u64_u32 v[4:5], null, s7, v6, v[1:2]
	v_mul_f64 v[5:6], v[90:91], v[42:43]
	scratch_load_b128 v[90:93], off, off offset:96 ; 16-byte Folded Reload
	s_waitcnt vmcnt(2)
	v_mul_f64 v[9:10], v[102:103], v[46:47]
	v_mul_f64 v[11:12], v[102:103], v[44:45]
	scratch_load_b128 v[102:105], off, off offset:168 ; 16-byte Folded Reload
	v_mov_b32_e32 v1, v4
	v_mad_u64_u32 v[86:87], null, s5, v255, v[3:4]
	s_mulk_i32 s5, 0xfe11
	s_delay_alu instid0(VALU_DEP_2) | instskip(SKIP_1) | instid1(SALU_CYCLE_1)
	v_lshlrev_b64 v[0:1], 4, v[0:1]
	s_add_i32 s7, s4, s5
	s_lshl_b64 s[4:5], s[6:7], 4
	s_delay_alu instid0(VALU_DEP_2) | instskip(SKIP_1) | instid1(VALU_DEP_2)
	v_mov_b32_e32 v3, v86
	s_mov_b32 s6, 0xdfd760e6
	v_add_co_u32 v86, s0, s8, v0
	s_delay_alu instid0(VALU_DEP_1) | instskip(NEXT) | instid1(VALU_DEP_3)
	v_add_co_ci_u32_e64 v87, s0, s9, v1, s0
	v_lshlrev_b64 v[2:3], 4, v[2:3]
	s_mov_b32 s7, 0x3f4b14bb
	v_fma_f64 v[0:1], v[88:89], v[40:41], v[5:6]
	v_fma_f64 v[4:5], v[88:89], v[42:43], -v[7:8]
	v_fma_f64 v[6:7], v[100:101], v[44:45], v[9:10]
	v_fma_f64 v[8:9], v[100:101], v[46:47], -v[11:12]
	v_add_co_u32 v42, s0, v86, v2
	s_delay_alu instid0(VALU_DEP_1) | instskip(NEXT) | instid1(VALU_DEP_2)
	v_add_co_ci_u32_e64 v43, s0, v87, v3, s0
	v_add_co_u32 v44, s0, v42, s2
	s_delay_alu instid0(VALU_DEP_1) | instskip(NEXT) | instid1(VALU_DEP_2)
	v_add_co_ci_u32_e64 v45, s0, s3, v43, s0
	v_add_co_u32 v46, s0, v44, s4
	s_delay_alu instid0(VALU_DEP_1)
	v_add_co_ci_u32_e64 v47, s0, s5, v45, s0
	v_mul_f64 v[2:3], v[0:1], s[6:7]
	v_mul_f64 v[4:5], v[4:5], s[6:7]
	v_mul_f64 v[6:7], v[6:7], s[6:7]
	v_mul_f64 v[8:9], v[8:9], s[6:7]
	s_waitcnt vmcnt(1)
	v_mul_f64 v[13:14], v[92:93], v[50:51]
	v_mul_f64 v[15:16], v[92:93], v[48:49]
	scratch_load_b128 v[92:95], off, off offset:112 ; 16-byte Folded Reload
	s_waitcnt vmcnt(1) lgkmcnt(3)
	v_mul_f64 v[29:30], v[104:105], v[66:67]
	v_mul_f64 v[31:32], v[104:105], v[64:65]
	scratch_load_b128 v[104:107], off, off offset:184 ; 16-byte Folded Reload
	v_mul_f64 v[25:26], v[110:111], v[62:63]
	v_mul_f64 v[27:28], v[110:111], v[60:61]
	scratch_load_b128 v[110:113], off, off offset:216 ; 16-byte Folded Reload
	v_fma_f64 v[10:11], v[90:91], v[48:49], v[13:14]
	v_fma_f64 v[12:13], v[90:91], v[50:51], -v[15:16]
	v_fma_f64 v[14:15], v[96:97], v[52:53], v[17:18]
	v_fma_f64 v[16:17], v[96:97], v[54:55], -v[19:20]
	v_add_co_u32 v48, s0, v46, s2
	s_delay_alu instid0(VALU_DEP_1) | instskip(NEXT) | instid1(VALU_DEP_2)
	v_add_co_ci_u32_e64 v49, s0, s3, v47, s0
	v_add_co_u32 v50, s0, v48, s4
	s_delay_alu instid0(VALU_DEP_1) | instskip(NEXT) | instid1(VALU_DEP_2)
	v_add_co_ci_u32_e64 v51, s0, s5, v49, s0
	;; [unrolled: 3-line block ×3, first 2 shown]
	v_add_co_u32 v54, s0, v52, s4
	s_delay_alu instid0(VALU_DEP_1)
	v_add_co_ci_u32_e64 v55, s0, s5, v53, s0
	v_mul_f64 v[10:11], v[10:11], s[6:7]
	v_mul_f64 v[12:13], v[12:13], s[6:7]
	;; [unrolled: 1-line block ×4, first 2 shown]
	s_waitcnt vmcnt(2)
	v_mul_f64 v[21:22], v[94:95], v[58:59]
	v_mul_f64 v[23:24], v[94:95], v[56:57]
	s_waitcnt vmcnt(1) lgkmcnt(2)
	v_mul_f64 v[33:34], v[106:107], v[70:71]
	v_mul_f64 v[35:36], v[106:107], v[68:69]
	s_waitcnt vmcnt(0) lgkmcnt(1)
	v_mul_f64 v[37:38], v[112:113], v[74:75]
	v_mul_f64 v[80:81], v[112:113], v[72:73]
	scratch_load_b128 v[112:115], off, off offset:232 ; 16-byte Folded Reload
	v_fma_f64 v[18:19], v[92:93], v[56:57], v[21:22]
	v_fma_f64 v[20:21], v[92:93], v[58:59], -v[23:24]
	v_fma_f64 v[22:23], v[108:109], v[60:61], v[25:26]
	v_fma_f64 v[24:25], v[108:109], v[62:63], -v[27:28]
	;; [unrolled: 2-line block ×3, first 2 shown]
	v_add_co_u32 v56, s0, v54, s2
	s_delay_alu instid0(VALU_DEP_1)
	v_add_co_ci_u32_e64 v57, s0, s3, v55, s0
	v_fma_f64 v[30:31], v[104:105], v[68:69], v[33:34]
	v_fma_f64 v[32:33], v[104:105], v[70:71], -v[35:36]
	v_fma_f64 v[34:35], v[110:111], v[72:73], v[37:38]
	v_fma_f64 v[36:37], v[110:111], v[74:75], -v[80:81]
	v_add_co_u32 v58, s0, v56, s4
	s_delay_alu instid0(VALU_DEP_1) | instskip(NEXT) | instid1(VALU_DEP_2)
	v_add_co_ci_u32_e64 v59, s0, s5, v57, s0
	v_add_co_u32 v0, s0, v58, s2
	s_delay_alu instid0(VALU_DEP_1)
	v_add_co_ci_u32_e64 v1, s0, s3, v59, s0
	v_mul_f64 v[18:19], v[18:19], s[6:7]
	v_mul_f64 v[20:21], v[20:21], s[6:7]
	v_mul_f64 v[22:23], v[22:23], s[6:7]
	v_mul_f64 v[24:25], v[24:25], s[6:7]
	v_mul_f64 v[26:27], v[26:27], s[6:7]
	v_mul_f64 v[28:29], v[28:29], s[6:7]
	v_mul_f64 v[30:31], v[30:31], s[6:7]
	v_mul_f64 v[32:33], v[32:33], s[6:7]
	v_mul_f64 v[34:35], v[34:35], s[6:7]
	v_mul_f64 v[36:37], v[36:37], s[6:7]
	s_waitcnt vmcnt(0) lgkmcnt(0)
	v_mul_f64 v[82:83], v[114:115], v[78:79]
	v_mul_f64 v[84:85], v[114:115], v[76:77]
	s_delay_alu instid0(VALU_DEP_2) | instskip(NEXT) | instid1(VALU_DEP_2)
	v_fma_f64 v[38:39], v[112:113], v[76:77], v[82:83]
	v_fma_f64 v[40:41], v[112:113], v[78:79], -v[84:85]
	s_delay_alu instid0(VALU_DEP_2) | instskip(NEXT) | instid1(VALU_DEP_2)
	v_mul_f64 v[38:39], v[38:39], s[6:7]
	v_mul_f64 v[40:41], v[40:41], s[6:7]
	s_clause 0x4
	global_store_b128 v[42:43], v[2:5], off
	global_store_b128 v[44:45], v[6:9], off
	;; [unrolled: 1-line block ×10, first 2 shown]
	s_and_b32 exec_lo, exec_lo, vcc_lo
	s_cbranch_execz .LBB0_23
; %bb.22:
	scratch_load_b64 v[2:3], off, off offset:88 ; 8-byte Folded Reload
	v_add_co_u32 v0, vcc_lo, v0, s4
	v_add_co_ci_u32_e32 v1, vcc_lo, s5, v1, vcc_lo
	s_waitcnt vmcnt(0)
	s_clause 0x1
	global_load_b128 v[2:5], v[2:3], off offset:608
	global_load_b128 v[6:9], v[206:207], off offset:2096
	ds_load_b128 v[10:13], v201 offset:8800
	ds_load_b128 v[14:17], v201 offset:18480
	s_waitcnt vmcnt(1) lgkmcnt(1)
	v_mul_f64 v[18:19], v[12:13], v[4:5]
	v_mul_f64 v[4:5], v[10:11], v[4:5]
	s_waitcnt vmcnt(0) lgkmcnt(0)
	v_mul_f64 v[20:21], v[16:17], v[8:9]
	v_mul_f64 v[8:9], v[14:15], v[8:9]
	s_delay_alu instid0(VALU_DEP_4) | instskip(NEXT) | instid1(VALU_DEP_4)
	v_fma_f64 v[10:11], v[10:11], v[2:3], v[18:19]
	v_fma_f64 v[4:5], v[2:3], v[12:13], -v[4:5]
	s_delay_alu instid0(VALU_DEP_4) | instskip(NEXT) | instid1(VALU_DEP_4)
	v_fma_f64 v[12:13], v[14:15], v[6:7], v[20:21]
	v_fma_f64 v[8:9], v[6:7], v[16:17], -v[8:9]
	s_delay_alu instid0(VALU_DEP_4) | instskip(NEXT) | instid1(VALU_DEP_4)
	v_mul_f64 v[2:3], v[10:11], s[6:7]
	v_mul_f64 v[4:5], v[4:5], s[6:7]
	s_delay_alu instid0(VALU_DEP_4) | instskip(NEXT) | instid1(VALU_DEP_4)
	v_mul_f64 v[6:7], v[12:13], s[6:7]
	v_mul_f64 v[8:9], v[8:9], s[6:7]
	v_add_co_u32 v10, vcc_lo, v0, s2
	v_add_co_ci_u32_e32 v11, vcc_lo, s3, v1, vcc_lo
	global_store_b128 v[0:1], v[2:5], off
	global_store_b128 v[10:11], v[6:9], off
.LBB0_23:
	s_nop 0
	s_sendmsg sendmsg(MSG_DEALLOC_VGPRS)
	s_endpgm
	.section	.rodata,"a",@progbits
	.p2align	6, 0x0
	.amdhsa_kernel bluestein_single_fwd_len1210_dim1_dp_op_CI_CI
		.amdhsa_group_segment_fixed_size 19360
		.amdhsa_private_segment_fixed_size 388
		.amdhsa_kernarg_size 104
		.amdhsa_user_sgpr_count 15
		.amdhsa_user_sgpr_dispatch_ptr 0
		.amdhsa_user_sgpr_queue_ptr 0
		.amdhsa_user_sgpr_kernarg_segment_ptr 1
		.amdhsa_user_sgpr_dispatch_id 0
		.amdhsa_user_sgpr_private_segment_size 0
		.amdhsa_wavefront_size32 1
		.amdhsa_uses_dynamic_stack 0
		.amdhsa_enable_private_segment 1
		.amdhsa_system_sgpr_workgroup_id_x 1
		.amdhsa_system_sgpr_workgroup_id_y 0
		.amdhsa_system_sgpr_workgroup_id_z 0
		.amdhsa_system_sgpr_workgroup_info 0
		.amdhsa_system_vgpr_workitem_id 0
		.amdhsa_next_free_vgpr 256
		.amdhsa_next_free_sgpr 40
		.amdhsa_reserve_vcc 1
		.amdhsa_float_round_mode_32 0
		.amdhsa_float_round_mode_16_64 0
		.amdhsa_float_denorm_mode_32 3
		.amdhsa_float_denorm_mode_16_64 3
		.amdhsa_dx10_clamp 1
		.amdhsa_ieee_mode 1
		.amdhsa_fp16_overflow 0
		.amdhsa_workgroup_processor_mode 1
		.amdhsa_memory_ordered 1
		.amdhsa_forward_progress 0
		.amdhsa_shared_vgpr_count 0
		.amdhsa_exception_fp_ieee_invalid_op 0
		.amdhsa_exception_fp_denorm_src 0
		.amdhsa_exception_fp_ieee_div_zero 0
		.amdhsa_exception_fp_ieee_overflow 0
		.amdhsa_exception_fp_ieee_underflow 0
		.amdhsa_exception_fp_ieee_inexact 0
		.amdhsa_exception_int_div_zero 0
	.end_amdhsa_kernel
	.text
.Lfunc_end0:
	.size	bluestein_single_fwd_len1210_dim1_dp_op_CI_CI, .Lfunc_end0-bluestein_single_fwd_len1210_dim1_dp_op_CI_CI
                                        ; -- End function
	.section	.AMDGPU.csdata,"",@progbits
; Kernel info:
; codeLenInByte = 22612
; NumSgprs: 42
; NumVgprs: 256
; ScratchSize: 388
; MemoryBound: 0
; FloatMode: 240
; IeeeMode: 1
; LDSByteSize: 19360 bytes/workgroup (compile time only)
; SGPRBlocks: 5
; VGPRBlocks: 31
; NumSGPRsForWavesPerEU: 42
; NumVGPRsForWavesPerEU: 256
; Occupancy: 5
; WaveLimiterHint : 1
; COMPUTE_PGM_RSRC2:SCRATCH_EN: 1
; COMPUTE_PGM_RSRC2:USER_SGPR: 15
; COMPUTE_PGM_RSRC2:TRAP_HANDLER: 0
; COMPUTE_PGM_RSRC2:TGID_X_EN: 1
; COMPUTE_PGM_RSRC2:TGID_Y_EN: 0
; COMPUTE_PGM_RSRC2:TGID_Z_EN: 0
; COMPUTE_PGM_RSRC2:TIDIG_COMP_CNT: 0
	.text
	.p2alignl 7, 3214868480
	.fill 96, 4, 3214868480
	.type	__hip_cuid_1adf5ea8f99ed3cd,@object ; @__hip_cuid_1adf5ea8f99ed3cd
	.section	.bss,"aw",@nobits
	.globl	__hip_cuid_1adf5ea8f99ed3cd
__hip_cuid_1adf5ea8f99ed3cd:
	.byte	0                               ; 0x0
	.size	__hip_cuid_1adf5ea8f99ed3cd, 1

	.ident	"AMD clang version 19.0.0git (https://github.com/RadeonOpenCompute/llvm-project roc-6.4.0 25133 c7fe45cf4b819c5991fe208aaa96edf142730f1d)"
	.section	".note.GNU-stack","",@progbits
	.addrsig
	.addrsig_sym __hip_cuid_1adf5ea8f99ed3cd
	.amdgpu_metadata
---
amdhsa.kernels:
  - .args:
      - .actual_access:  read_only
        .address_space:  global
        .offset:         0
        .size:           8
        .value_kind:     global_buffer
      - .actual_access:  read_only
        .address_space:  global
        .offset:         8
        .size:           8
        .value_kind:     global_buffer
      - .actual_access:  read_only
        .address_space:  global
        .offset:         16
        .size:           8
        .value_kind:     global_buffer
      - .actual_access:  read_only
        .address_space:  global
        .offset:         24
        .size:           8
        .value_kind:     global_buffer
      - .actual_access:  read_only
        .address_space:  global
        .offset:         32
        .size:           8
        .value_kind:     global_buffer
      - .offset:         40
        .size:           8
        .value_kind:     by_value
      - .address_space:  global
        .offset:         48
        .size:           8
        .value_kind:     global_buffer
      - .address_space:  global
        .offset:         56
        .size:           8
        .value_kind:     global_buffer
      - .address_space:  global
        .offset:         64
        .size:           8
        .value_kind:     global_buffer
      - .address_space:  global
        .offset:         72
        .size:           8
        .value_kind:     global_buffer
      - .offset:         80
        .size:           4
        .value_kind:     by_value
      - .address_space:  global
        .offset:         88
        .size:           8
        .value_kind:     global_buffer
      - .address_space:  global
        .offset:         96
        .size:           8
        .value_kind:     global_buffer
    .group_segment_fixed_size: 19360
    .kernarg_segment_align: 8
    .kernarg_segment_size: 104
    .language:       OpenCL C
    .language_version:
      - 2
      - 0
    .max_flat_workgroup_size: 110
    .name:           bluestein_single_fwd_len1210_dim1_dp_op_CI_CI
    .private_segment_fixed_size: 388
    .sgpr_count:     42
    .sgpr_spill_count: 0
    .symbol:         bluestein_single_fwd_len1210_dim1_dp_op_CI_CI.kd
    .uniform_work_group_size: 1
    .uses_dynamic_stack: false
    .vgpr_count:     256
    .vgpr_spill_count: 112
    .wavefront_size: 32
    .workgroup_processor_mode: 1
amdhsa.target:   amdgcn-amd-amdhsa--gfx1100
amdhsa.version:
  - 1
  - 2
...

	.end_amdgpu_metadata
